;; amdgpu-corpus repo=ROCm/rocFFT kind=compiled arch=gfx1201 opt=O3
	.text
	.amdgcn_target "amdgcn-amd-amdhsa--gfx1201"
	.amdhsa_code_object_version 6
	.protected	bluestein_single_fwd_len242_dim1_dp_op_CI_CI ; -- Begin function bluestein_single_fwd_len242_dim1_dp_op_CI_CI
	.globl	bluestein_single_fwd_len242_dim1_dp_op_CI_CI
	.p2align	8
	.type	bluestein_single_fwd_len242_dim1_dp_op_CI_CI,@function
bluestein_single_fwd_len242_dim1_dp_op_CI_CI: ; @bluestein_single_fwd_len242_dim1_dp_op_CI_CI
; %bb.0:
	s_load_b128 s[16:19], s[0:1], 0x28
	v_mul_u32_u24_e32 v1, 0xba3, v0
	s_mov_b32 s2, exec_lo
	s_delay_alu instid0(VALU_DEP_1) | instskip(NEXT) | instid1(VALU_DEP_1)
	v_lshrrev_b32_e32 v1, 16, v1
	v_mad_co_u64_u32 v[156:157], null, ttmp9, 5, v[1:2]
	v_mov_b32_e32 v157, 0
                                        ; kill: def $vgpr2 killed $sgpr0 killed $exec
	s_wait_kmcnt 0x0
	s_delay_alu instid0(VALU_DEP_1)
	v_cmpx_gt_u64_e64 s[16:17], v[156:157]
	s_cbranch_execz .LBB0_10
; %bb.1:
	s_clause 0x1
	s_load_b128 s[4:7], s[0:1], 0x18
	s_load_b128 s[8:11], s[0:1], 0x0
	v_mul_lo_u16 v1, v1, 22
	s_mov_b32 s26, 0xf8bb580b
	s_mov_b32 s27, 0xbfe14ced
	;; [unrolled: 1-line block ×4, first 2 shown]
	v_sub_nc_u16 v68, v0, v1
	s_mov_b32 s22, 0x43842ef
	s_mov_b32 s23, 0xbfefac9e
	;; [unrolled: 1-line block ×4, first 2 shown]
	v_and_b32_e32 v157, 0xffff, v68
	s_mov_b32 s28, 0xfd768dbf
	s_mov_b32 s29, 0xbfd207e7
	;; [unrolled: 1-line block ×7, first 2 shown]
	s_wait_kmcnt 0x0
	s_load_b128 s[12:15], s[4:5], 0x0
	s_mov_b32 s17, 0xbfe4f49e
	s_mov_b32 s37, 0x3fefac9e
	;; [unrolled: 1-line block ×3, first 2 shown]
	s_wait_kmcnt 0x0
	v_mad_co_u64_u32 v[8:9], null, s12, v157, 0
	v_mad_co_u64_u32 v[0:1], null, s14, v156, 0
	s_mul_u64 s[2:3], s[12:13], 0x160
	s_delay_alu instid0(VALU_DEP_2) | instskip(SKIP_1) | instid1(VALU_DEP_2)
	v_mov_b32_e32 v2, v9
	v_lshlrev_b32_e32 v118, 4, v157
	v_mad_co_u64_u32 v[3:4], null, s15, v156, v[1:2]
	s_mov_b32 s14, 0x640f44db
	s_mov_b32 s15, 0xbfc2375f
	s_delay_alu instid0(VALU_DEP_1) | instskip(SKIP_3) | instid1(VALU_DEP_1)
	v_mad_co_u64_u32 v[4:5], null, s13, v157, v[2:3]
	v_mov_b32_e32 v1, v3
	s_mov_b32 s12, 0xd9c712b6
	s_mov_b32 s13, 0x3fda9628
	v_lshlrev_b64_e32 v[10:11], 4, v[0:1]
	s_delay_alu instid0(VALU_DEP_3)
	v_mov_b32_e32 v9, v4
	s_clause 0x1
	global_load_b128 v[2:5], v118, s[8:9]
	global_load_b128 v[12:15], v118, s[8:9] offset:352
	v_add_co_u32 v0, vcc_lo, s18, v10
	v_lshlrev_b64_e32 v[16:17], 4, v[8:9]
	v_add_co_ci_u32_e32 v1, vcc_lo, s19, v11, vcc_lo
	s_clause 0x5
	global_load_b128 v[6:9], v118, s[8:9] offset:704
	global_load_b128 v[18:21], v118, s[8:9] offset:1056
	;; [unrolled: 1-line block ×6, first 2 shown]
	v_add_co_u32 v32, vcc_lo, v0, v16
	s_wait_alu 0xfffd
	v_add_co_ci_u32_e32 v33, vcc_lo, v1, v17, vcc_lo
	v_mul_hi_u32 v0, 0xcccccccd, v156
	s_delay_alu instid0(VALU_DEP_3) | instskip(SKIP_1) | instid1(VALU_DEP_3)
	v_add_co_u32 v34, vcc_lo, v32, s2
	s_wait_alu 0xfffd
	v_add_co_ci_u32_e32 v35, vcc_lo, s3, v33, vcc_lo
	global_load_b128 v[44:47], v[32:33], off
	v_add_co_u32 v36, vcc_lo, v34, s2
	s_wait_alu 0xfffd
	v_add_co_ci_u32_e32 v37, vcc_lo, s3, v35, vcc_lo
	s_clause 0x1
	global_load_b128 v[48:51], v[34:35], off
	global_load_b128 v[52:55], v[36:37], off
	v_add_co_u32 v38, vcc_lo, v36, s2
	s_wait_alu 0xfffd
	v_add_co_ci_u32_e32 v39, vcc_lo, s3, v37, vcc_lo
	v_lshrrev_b32_e32 v0, 2, v0
	s_delay_alu instid0(VALU_DEP_3) | instskip(SKIP_1) | instid1(VALU_DEP_3)
	v_add_co_u32 v32, vcc_lo, v38, s2
	s_wait_alu 0xfffd
	v_add_co_ci_u32_e32 v33, vcc_lo, s3, v39, vcc_lo
	s_clause 0x1
	global_load_b128 v[56:59], v[38:39], off
	global_load_b128 v[60:63], v[32:33], off
	v_add_co_u32 v34, vcc_lo, v32, s2
	s_wait_alu 0xfffd
	v_add_co_ci_u32_e32 v35, vcc_lo, s3, v33, vcc_lo
	v_lshl_add_u32 v0, v0, 2, v0
	s_delay_alu instid0(VALU_DEP_3) | instskip(SKIP_1) | instid1(VALU_DEP_3)
	v_add_co_u32 v32, vcc_lo, v34, s2
	s_wait_alu 0xfffd
	v_add_co_ci_u32_e32 v33, vcc_lo, s3, v35, vcc_lo
	global_load_b128 v[64:67], v[34:35], off
	v_add_co_u32 v34, vcc_lo, v32, s2
	s_wait_alu 0xfffd
	v_add_co_ci_u32_e32 v35, vcc_lo, s3, v33, vcc_lo
	global_load_b128 v[69:72], v[32:33], off
	;; [unrolled: 4-line block ×4, first 2 shown]
	v_add_co_u32 v85, vcc_lo, v40, s2
	s_wait_alu 0xfffd
	v_add_co_ci_u32_e32 v86, vcc_lo, s3, v41, vcc_lo
	s_clause 0x1
	global_load_b128 v[34:37], v118, s[8:9] offset:2816
	global_load_b128 v[30:33], v118, s[8:9] offset:3168
	global_load_b128 v[81:84], v[40:41], off
	global_load_b128 v[38:41], v118, s[8:9] offset:3520
	global_load_b128 v[85:88], v[85:86], off
	v_sub_nc_u32_e32 v0, v156, v0
	s_load_b128 s[4:7], s[6:7], 0x0
	s_mov_b32 s2, 0x8764f0ba
	s_mov_b32 s3, 0x3feaeb8c
	;; [unrolled: 1-line block ×3, first 2 shown]
	v_mul_u32_u24_e32 v0, 0xf2, v0
	s_mov_b32 s19, 0xbfeeb42a
	v_cmp_gt_u16_e32 vcc_lo, 11, v68
	s_delay_alu instid0(VALU_DEP_2) | instskip(SKIP_1) | instid1(VALU_DEP_2)
	v_lshlrev_b32_e32 v159, 4, v0
	v_mul_lo_u16 v0, v68, 11
	v_add_nc_u32_e32 v158, v118, v159
	s_delay_alu instid0(VALU_DEP_2)
	v_and_b32_e32 v0, 0xffff, v0
	s_wait_loadcnt 0x15
	scratch_store_b128 off, v[2:5], off     ; 16-byte Folded Spill
	s_wait_loadcnt 0x14
	scratch_store_b128 off, v[12:15], off offset:16 ; 16-byte Folded Spill
	s_wait_loadcnt 0x13
	scratch_store_b128 off, v[6:9], off offset:32 ; 16-byte Folded Spill
	;; [unrolled: 2-line block ×7, first 2 shown]
	s_wait_loadcnt 0xd
	v_mul_f64_e32 v[89:90], v[46:47], v[4:5]
	v_mul_f64_e32 v[91:92], v[44:45], v[4:5]
	s_wait_loadcnt 0xc
	v_mul_f64_e32 v[93:94], v[50:51], v[14:15]
	v_mul_f64_e32 v[95:96], v[48:49], v[14:15]
	;; [unrolled: 3-line block ×7, first 2 shown]
	v_fma_f64 v[44:45], v[44:45], v[2:3], v[89:90]
	s_wait_loadcnt 0x6
	v_mul_f64_e32 v[119:120], v[75:76], v[141:142]
	v_mul_f64_e32 v[121:122], v[73:74], v[141:142]
	v_fma_f64 v[46:47], v[46:47], v[2:3], -v[91:92]
	v_fma_f64 v[48:49], v[48:49], v[12:13], v[93:94]
	s_wait_loadcnt 0x4
	v_mul_f64_e32 v[123:124], v[79:80], v[36:37]
	v_mul_f64_e32 v[125:126], v[77:78], v[36:37]
	s_wait_loadcnt 0x2
	v_mul_f64_e32 v[127:128], v[83:84], v[32:33]
	v_mul_f64_e32 v[129:130], v[81:82], v[32:33]
	;; [unrolled: 3-line block ×3, first 2 shown]
	v_fma_f64 v[50:51], v[50:51], v[12:13], -v[95:96]
	v_fma_f64 v[52:53], v[52:53], v[6:7], v[97:98]
	v_fma_f64 v[54:55], v[54:55], v[6:7], -v[99:100]
	s_clause 0x1
	scratch_store_b128 off, v[34:37], off offset:144
	scratch_store_b128 off, v[30:33], off offset:128
	v_fma_f64 v[56:57], v[56:57], v[18:19], v[101:102]
	v_fma_f64 v[58:59], v[58:59], v[18:19], -v[103:104]
	v_fma_f64 v[60:61], v[60:61], v[22:23], v[105:106]
	v_fma_f64 v[62:63], v[62:63], v[22:23], -v[107:108]
	scratch_store_b128 off, v[38:41], off offset:160 ; 16-byte Folded Spill
	v_fma_f64 v[64:65], v[64:65], v[26:27], v[109:110]
	v_fma_f64 v[66:67], v[66:67], v[26:27], -v[111:112]
	v_fma_f64 v[69:70], v[69:70], v[135:136], v[113:114]
	v_fma_f64 v[71:72], v[71:72], v[135:136], -v[115:116]
	v_fma_f64 v[73:74], v[73:74], v[139:140], v[119:120]
	v_fma_f64 v[75:76], v[75:76], v[139:140], -v[121:122]
	v_fma_f64 v[77:78], v[77:78], v[34:35], v[123:124]
	v_fma_f64 v[79:80], v[79:80], v[34:35], -v[125:126]
	v_fma_f64 v[81:82], v[81:82], v[30:31], v[127:128]
	v_fma_f64 v[83:84], v[83:84], v[30:31], -v[129:130]
	v_fma_f64 v[85:86], v[85:86], v[38:39], v[131:132]
	v_fma_f64 v[87:88], v[87:88], v[38:39], -v[133:134]
	ds_store_b128 v158, v[44:47]
	ds_store_b128 v158, v[48:51] offset:352
	ds_store_b128 v158, v[52:55] offset:704
	;; [unrolled: 1-line block ×10, first 2 shown]
	global_wb scope:SCOPE_SE
	s_wait_storecnt_dscnt 0x0
	s_wait_kmcnt 0x0
	s_barrier_signal -1
	s_barrier_wait -1
	global_inv scope:SCOPE_SE
	ds_load_b128 v[48:51], v158
	ds_load_b128 v[69:72], v158 offset:352
	ds_load_b128 v[44:47], v158 offset:3520
	;; [unrolled: 1-line block ×10, first 2 shown]
	global_wb scope:SCOPE_SE
	s_wait_dscnt 0x0
	s_barrier_signal -1
	s_barrier_wait -1
	global_inv scope:SCOPE_SE
	v_add_f64_e32 v[89:90], v[48:49], v[69:70]
	v_add_f64_e32 v[91:92], v[50:51], v[71:72]
	v_add_f64_e64 v[93:94], v[71:72], -v[46:47]
	v_add_f64_e64 v[95:96], v[69:70], -v[44:45]
	;; [unrolled: 1-line block ×4, first 2 shown]
	v_add_f64_e32 v[105:106], v[77:78], v[56:57]
	v_add_f64_e32 v[107:108], v[79:80], v[58:59]
	v_add_f64_e64 v[97:98], v[75:76], -v[54:55]
	v_add_f64_e64 v[99:100], v[73:74], -v[52:53]
	v_add_f64_e32 v[69:70], v[69:70], v[44:45]
	v_add_f64_e32 v[71:72], v[71:72], v[46:47]
	v_add_f64_e64 v[123:124], v[85:86], -v[64:65]
	v_add_f64_e32 v[109:110], v[81:82], v[60:61]
	v_add_f64_e64 v[111:112], v[83:84], -v[62:63]
	v_add_f64_e64 v[113:114], v[81:82], -v[60:61]
	v_add_f64_e32 v[115:116], v[83:84], v[62:63]
	v_add_f64_e64 v[125:126], v[87:88], -v[66:67]
	v_add_f64_e32 v[119:120], v[85:86], v[64:65]
	v_add_f64_e32 v[121:122], v[87:88], v[66:67]
	;; [unrolled: 1-line block ×4, first 2 shown]
	v_mul_f64_e32 v[127:128], s[26:27], v[93:94]
	v_mul_f64_e32 v[129:130], s[26:27], v[95:96]
	;; [unrolled: 1-line block ×12, first 2 shown]
	s_mov_b32 s21, 0x3fed1bb4
	v_add_f64_e32 v[73:74], v[73:74], v[52:53]
	v_add_f64_e32 v[75:76], v[75:76], v[54:55]
	v_mul_f64_e32 v[147:148], s[24:25], v[97:98]
	v_mul_f64_e32 v[149:150], s[24:25], v[99:100]
	;; [unrolled: 1-line block ×16, first 2 shown]
	s_wait_alu 0xfffe
	v_mul_f64_e32 v[101:102], s[20:21], v[101:102]
	v_mul_f64_e32 v[103:104], s[20:21], v[103:104]
	;; [unrolled: 1-line block ×5, first 2 shown]
	v_add_f64_e32 v[77:78], v[89:90], v[77:78]
	v_add_f64_e32 v[79:80], v[91:92], v[79:80]
	v_mul_f64_e32 v[89:90], s[34:35], v[97:98]
	v_mul_f64_e32 v[91:92], s[34:35], v[99:100]
	v_fma_f64 v[208:209], v[69:70], s[12:13], -v[131:132]
	v_fma_f64 v[210:211], v[71:72], s[12:13], v[133:134]
	v_fma_f64 v[212:213], v[69:70], s[14:15], -v[135:136]
	v_fma_f64 v[214:215], v[71:72], s[14:15], v[137:138]
	v_fma_f64 v[131:132], v[69:70], s[12:13], v[131:132]
	;; [unrolled: 1-line block ×3, first 2 shown]
	v_fma_f64 v[216:217], v[69:70], s[16:17], -v[139:140]
	v_fma_f64 v[218:219], v[71:72], s[16:17], v[141:142]
	v_mul_f64_e32 v[97:98], s[30:31], v[97:98]
	v_mul_f64_e32 v[99:100], s[30:31], v[99:100]
	v_fma_f64 v[139:140], v[69:70], s[16:17], v[139:140]
	v_fma_f64 v[220:221], v[69:70], s[18:19], -v[93:94]
	v_fma_f64 v[222:223], v[71:72], s[18:19], v[95:96]
	v_fma_f64 v[133:134], v[71:72], s[12:13], -v[133:134]
	v_fma_f64 v[137:138], v[71:72], s[14:15], -v[137:138]
	;; [unrolled: 1-line block ×4, first 2 shown]
	v_fma_f64 v[226:227], v[75:76], s[16:17], v[149:150]
	v_fma_f64 v[147:148], v[73:74], s[16:17], v[147:148]
	v_fma_f64 v[232:233], v[73:74], s[14:15], -v[151:152]
	v_fma_f64 v[234:235], v[75:76], s[14:15], v[153:154]
	v_fma_f64 v[151:152], v[73:74], s[14:15], v[151:152]
	v_fma_f64 v[149:150], v[75:76], s[16:17], -v[149:150]
	v_mul_f64_e32 v[182:183], s[36:37], v[113:114]
	v_mul_f64_e32 v[184:185], s[26:27], v[111:112]
	;; [unrolled: 1-line block ×8, first 2 shown]
	v_fma_f64 v[236:237], v[105:106], s[18:19], -v[164:165]
	v_fma_f64 v[238:239], v[107:108], s[18:19], v[166:167]
	v_fma_f64 v[164:165], v[105:106], s[18:19], v[164:165]
	v_add_f64_e32 v[77:78], v[77:78], v[81:82]
	v_add_f64_e32 v[79:80], v[79:80], v[83:84]
	v_mul_f64_e32 v[81:82], s[20:21], v[123:124]
	v_fma_f64 v[83:84], v[69:70], s[2:3], -v[127:128]
	v_fma_f64 v[123:124], v[71:72], s[2:3], v[129:130]
	v_fma_f64 v[127:128], v[69:70], s[2:3], v[127:128]
	v_fma_f64 v[129:130], v[71:72], s[2:3], -v[129:130]
	v_fma_f64 v[69:70], v[69:70], s[18:19], v[93:94]
	v_fma_f64 v[71:72], v[71:72], s[18:19], -v[95:96]
	v_fma_f64 v[93:94], v[73:74], s[12:13], -v[143:144]
	v_fma_f64 v[95:96], v[75:76], s[12:13], v[145:146]
	v_fma_f64 v[143:144], v[73:74], s[12:13], v[143:144]
	v_fma_f64 v[145:146], v[75:76], s[12:13], -v[145:146]
	v_add_f64_e32 v[208:209], v[48:49], v[208:209]
	v_add_f64_e32 v[210:211], v[50:51], v[210:211]
	v_fma_f64 v[228:229], v[73:74], s[18:19], -v[89:90]
	v_fma_f64 v[230:231], v[75:76], s[18:19], v[91:92]
	v_add_f64_e32 v[212:213], v[48:49], v[212:213]
	v_add_f64_e32 v[214:215], v[50:51], v[214:215]
	v_fma_f64 v[89:90], v[73:74], s[18:19], v[89:90]
	v_add_f64_e32 v[131:132], v[48:49], v[131:132]
	v_add_f64_e32 v[135:136], v[48:49], v[135:136]
	;; [unrolled: 1-line block ×7, first 2 shown]
	v_fma_f64 v[91:92], v[75:76], s[18:19], -v[91:92]
	v_add_f64_e32 v[137:138], v[50:51], v[137:138]
	v_add_f64_e32 v[133:134], v[50:51], v[133:134]
	v_fma_f64 v[166:167], v[107:108], s[18:19], -v[166:167]
	v_fma_f64 v[240:241], v[105:106], s[2:3], -v[168:169]
	v_fma_f64 v[242:243], v[107:108], s[2:3], v[170:171]
	v_fma_f64 v[168:169], v[105:106], s[2:3], v[168:169]
	v_fma_f64 v[170:171], v[107:108], s[2:3], -v[170:171]
	v_fma_f64 v[248:249], v[105:106], s[12:13], -v[101:102]
	v_fma_f64 v[101:102], v[105:106], s[12:13], v[101:102]
	v_mul_f64_e32 v[196:197], s[30:31], v[125:126]
	v_add_f64_e32 v[77:78], v[77:78], v[85:86]
	v_add_f64_e32 v[79:80], v[79:80], v[87:88]
	v_fma_f64 v[85:86], v[75:76], s[14:15], -v[153:154]
	v_add_f64_e32 v[83:84], v[48:49], v[83:84]
	v_fma_f64 v[87:88], v[73:74], s[2:3], -v[97:98]
	v_add_f64_e32 v[127:128], v[48:49], v[127:128]
	v_add_f64_e32 v[129:130], v[50:51], v[129:130]
	v_fma_f64 v[153:154], v[75:76], s[2:3], v[99:100]
	v_fma_f64 v[73:74], v[73:74], s[2:3], v[97:98]
	v_fma_f64 v[75:76], v[75:76], s[2:3], -v[99:100]
	v_add_f64_e32 v[48:49], v[48:49], v[69:70]
	v_add_f64_e32 v[69:70], v[50:51], v[71:72]
	;; [unrolled: 1-line block ×4, first 2 shown]
	v_fma_f64 v[97:98], v[105:106], s[14:15], -v[160:161]
	v_fma_f64 v[99:100], v[107:108], s[14:15], v[162:163]
	v_fma_f64 v[160:161], v[105:106], s[14:15], v[160:161]
	v_fma_f64 v[162:163], v[107:108], s[14:15], -v[162:163]
	v_fma_f64 v[123:124], v[105:106], s[16:17], v[172:173]
	v_fma_f64 v[141:142], v[107:108], s[16:17], -v[174:175]
	v_add_f64_e32 v[131:132], v[147:148], v[131:132]
	v_add_f64_e32 v[89:90], v[89:90], v[135:136]
	;; [unrolled: 1-line block ×5, first 2 shown]
	v_fma_f64 v[244:245], v[109:110], s[14:15], -v[180:181]
	v_fma_f64 v[246:247], v[115:116], s[14:15], v[182:183]
	v_fma_f64 v[180:181], v[109:110], s[14:15], v[180:181]
	v_mul_f64_e32 v[200:201], s[24:25], v[125:126]
	v_mul_f64_e32 v[204:205], s[22:23], v[125:126]
	;; [unrolled: 1-line block ×3, first 2 shown]
	v_fma_f64 v[182:183], v[115:116], s[14:15], -v[182:183]
	v_add_f64_e32 v[64:65], v[77:78], v[64:65]
	v_add_f64_e32 v[66:67], v[79:80], v[66:67]
	v_fma_f64 v[77:78], v[105:106], s[16:17], -v[172:173]
	v_fma_f64 v[79:80], v[107:108], s[16:17], v[174:175]
	v_fma_f64 v[105:106], v[107:108], s[12:13], v[103:104]
	v_fma_f64 v[103:104], v[107:108], s[12:13], -v[103:104]
	v_add_f64_e32 v[83:84], v[93:94], v[83:84]
	v_add_f64_e32 v[93:94], v[143:144], v[127:128]
	;; [unrolled: 1-line block ×15, first 2 shown]
	v_fma_f64 v[172:173], v[109:110], s[16:17], -v[176:177]
	v_fma_f64 v[174:175], v[115:116], s[16:17], v[178:179]
	v_fma_f64 v[176:177], v[109:110], s[16:17], v[176:177]
	v_fma_f64 v[178:179], v[115:116], s[16:17], -v[178:179]
	v_fma_f64 v[85:86], v[109:110], s[2:3], v[184:185]
	v_fma_f64 v[91:92], v[115:116], s[2:3], -v[186:187]
	v_fma_f64 v[95:96], v[109:110], s[18:19], -v[188:189]
	v_fma_f64 v[133:134], v[115:116], s[18:19], v[190:191]
	v_fma_f64 v[137:138], v[109:110], s[18:19], v[188:189]
	v_fma_f64 v[149:150], v[115:116], s[18:19], -v[190:191]
	v_fma_f64 v[153:154], v[119:120], s[18:19], -v[192:193]
	;; [unrolled: 1-line block ×3, first 2 shown]
	v_add_f64_e32 v[89:90], v[101:102], v[89:90]
	v_add_f64_e32 v[101:102], v[240:241], v[135:136]
	v_fma_f64 v[188:189], v[121:122], s[18:19], -v[194:195]
	v_fma_f64 v[135:136], v[119:120], s[16:17], v[200:201]
	v_add_f64_e32 v[60:61], v[64:65], v[60:61]
	v_add_f64_e32 v[62:63], v[66:67], v[62:63]
	v_fma_f64 v[64:65], v[109:110], s[2:3], -v[184:185]
	v_fma_f64 v[66:67], v[115:116], s[2:3], v[186:187]
	v_fma_f64 v[186:187], v[119:120], s[18:19], v[192:193]
	;; [unrolled: 1-line block ×4, first 2 shown]
	v_fma_f64 v[111:112], v[115:116], s[12:13], -v[113:114]
	v_add_f64_e32 v[83:84], v[97:98], v[83:84]
	v_add_f64_e32 v[93:94], v[160:161], v[93:94]
	v_add_f64_e32 v[97:98], v[162:163], v[107:108]
	v_add_f64_e32 v[107:108], v[236:237], v[127:128]
	v_add_f64_e32 v[113:114], v[238:239], v[129:130]
	v_add_f64_e32 v[127:128], v[248:249], v[143:144]
	v_add_f64_e32 v[105:106], v[105:106], v[145:146]
	v_add_f64_e32 v[129:130], v[242:243], v[147:148]
	v_add_f64_e32 v[115:116], v[164:165], v[131:132]
	v_add_f64_e32 v[77:78], v[77:78], v[87:88]
	v_add_f64_e32 v[79:80], v[79:80], v[151:152]
	v_add_f64_e32 v[48:49], v[123:124], v[48:49]
	v_add_f64_e32 v[69:70], v[141:142], v[69:70]
	v_add_f64_e32 v[131:132], v[168:169], v[139:140]
	v_add_f64_e32 v[71:72], v[170:171], v[71:72]
	v_add_f64_e32 v[73:74], v[103:104], v[73:74]
	v_add_f64_e32 v[75:76], v[166:167], v[75:76]
	v_add_f64_e32 v[50:51], v[99:100], v[50:51]
	v_fma_f64 v[184:185], v[121:122], s[18:19], v[194:195]
	v_fma_f64 v[99:100], v[121:122], s[2:3], -v[198:199]
	v_fma_f64 v[123:124], v[121:122], s[16:17], v[202:203]
	v_fma_f64 v[139:140], v[121:122], s[16:17], -v[202:203]
	;; [unrolled: 2-line block ×4, first 2 shown]
	v_fma_f64 v[151:152], v[119:120], s[12:13], -v[125:126]
	v_add_f64_e32 v[85:86], v[85:86], v[89:90]
	v_add_f64_e32 v[89:90], v[95:96], v[101:102]
	v_fma_f64 v[87:88], v[119:120], s[2:3], v[196:197]
	v_add_f64_e32 v[56:57], v[60:61], v[56:57]
	v_add_f64_e32 v[58:59], v[62:63], v[58:59]
	v_fma_f64 v[60:61], v[119:120], s[2:3], -v[196:197]
	v_fma_f64 v[62:63], v[121:122], s[2:3], v[198:199]
	v_fma_f64 v[121:122], v[121:122], s[12:13], -v[81:82]
	v_fma_f64 v[141:142], v[119:120], s[14:15], -v[204:205]
	v_fma_f64 v[145:146], v[119:120], s[14:15], v[204:205]
	v_fma_f64 v[119:120], v[119:120], s[12:13], v[125:126]
	v_add_f64_e32 v[81:82], v[172:173], v[83:84]
	v_add_f64_e32 v[83:84], v[176:177], v[93:94]
	;; [unrolled: 1-line block ×18, first 2 shown]
	s_load_b64 s[2:3], s[0:1], 0x38
	v_add_f64_e32 v[76:77], v[151:152], v[89:90]
	v_add_f64_e32 v[129:130], v[56:57], v[52:53]
	;; [unrolled: 1-line block ×22, first 2 shown]
	v_lshl_add_u32 v124, v0, 4, v159
	v_add_co_u32 v116, s0, s8, v118
	s_wait_alu 0xf1ff
	v_add_co_ci_u32_e64 v117, null, s9, 0, s0
                                        ; implicit-def: $vgpr92_vgpr93
	v_add_f64_e32 v[44:45], v[129:130], v[44:45]
	v_add_f64_e32 v[46:47], v[131:132], v[46:47]
	ds_store_b128 v124, v[52:55] offset:32
	ds_store_b128 v124, v[60:63] offset:48
	;; [unrolled: 1-line block ×9, first 2 shown]
	ds_store_b128 v124, v[44:47]
	ds_store_b128 v124, v[48:51] offset:16
	global_wb scope:SCOPE_SE
	s_wait_dscnt 0x0
	s_wait_kmcnt 0x0
	s_barrier_signal -1
	s_barrier_wait -1
	global_inv scope:SCOPE_SE
	ds_load_b128 v[76:79], v158
	ds_load_b128 v[80:83], v158 offset:352
	ds_load_b128 v[96:99], v158 offset:2288
	;; [unrolled: 1-line block ×9, first 2 shown]
	s_and_saveexec_b32 s0, vcc_lo
	s_cbranch_execz .LBB0_3
; %bb.2:
	ds_load_b128 v[72:75], v158 offset:1760
	ds_load_b128 v[92:95], v158 offset:3696
.LBB0_3:
	s_wait_alu 0xfffe
	s_or_b32 exec_lo, exec_lo, s0
	v_add_nc_u16 v0, v157, 22
	v_add_nc_u16 v1, v157, 44
	;; [unrolled: 1-line block ×4, first 2 shown]
	v_add_co_u32 v10, s0, v157, -11
	v_and_b32_e32 v3, 0xff, v0
	v_and_b32_e32 v4, 0xff, v1
	s_delay_alu instid0(VALU_DEP_3) | instskip(SKIP_1) | instid1(VALU_DEP_4)
	v_dual_cndmask_b32 v119, v10, v157 :: v_dual_and_b32 v6, 0xff, v2
	v_and_b32_e32 v7, 0xff, v5
	v_mul_lo_u16 v3, 0x75, v3
	s_delay_alu instid0(VALU_DEP_4) | instskip(NEXT) | instid1(VALU_DEP_4)
	v_mul_lo_u16 v4, 0x75, v4
	v_mul_lo_u16 v6, 0x75, v6
	s_wait_alu 0xf1ff
	v_add_co_ci_u32_e64 v11, null, 0, -1, s0
	v_lshrrev_b16 v3, 8, v3
	v_mul_lo_u16 v7, 0x75, v7
	v_lshrrev_b16 v4, 8, v4
	v_lshrrev_b16 v6, 8, v6
	v_cndmask_b32_e64 v120, v11, 0, vcc_lo
	v_sub_nc_u16 v8, v0, v3
	v_lshrrev_b16 v7, 8, v7
	v_sub_nc_u16 v9, v1, v4
	v_sub_nc_u16 v12, v2, v6
	v_add_nc_u16 v13, v157, 0x6e
	v_lshrrev_b16 v8, 1, v8
	v_sub_nc_u16 v14, v5, v7
	v_lshrrev_b16 v9, 1, v9
	v_lshrrev_b16 v12, 1, v12
	v_lshlrev_b64_e32 v[44:45], 4, v[119:120]
	v_and_b32_e32 v8, 0x7f, v8
	v_lshrrev_b16 v11, 1, v14
	v_and_b32_e32 v9, 0x7f, v9
	v_and_b32_e32 v12, 0x7f, v12
	s_delay_alu instid0(VALU_DEP_4) | instskip(NEXT) | instid1(VALU_DEP_4)
	v_add_nc_u16 v3, v8, v3
	v_and_b32_e32 v8, 0x7f, v11
	s_delay_alu instid0(VALU_DEP_4) | instskip(NEXT) | instid1(VALU_DEP_4)
	v_add_nc_u16 v4, v9, v4
	v_add_nc_u16 v6, v12, v6
	v_and_b32_e32 v9, 0xff, v13
	v_lshrrev_b16 v3, 3, v3
	v_add_nc_u16 v7, v8, v7
	v_lshrrev_b16 v4, 3, v4
	v_lshrrev_b16 v6, 3, v6
	v_add_co_u32 v44, s0, s10, v44
	v_mul_lo_u16 v8, v3, 11
	v_lshrrev_b16 v7, 3, v7
	v_mul_lo_u16 v10, v4, 11
	v_mul_lo_u16 v11, v6, 11
	s_wait_alu 0xf1ff
	v_add_co_ci_u32_e64 v45, s0, s11, v45, s0
	v_sub_nc_u16 v0, v0, v8
	v_mul_lo_u16 v8, 0x75, v9
	v_mul_lo_u16 v9, v7, 11
	v_sub_nc_u16 v1, v1, v10
	v_sub_nc_u16 v2, v2, v11
	v_and_b32_e32 v10, 0xff, v0
	v_lshrrev_b16 v8, 8, v8
	v_sub_nc_u16 v5, v5, v9
	v_and_b32_e32 v1, 0xff, v1
	v_and_b32_e32 v2, 0xff, v2
	v_lshlrev_b32_e32 v9, 4, v10
	v_sub_nc_u16 v11, v13, v8
	v_and_b32_e32 v5, 0xff, v5
	v_lshlrev_b32_e32 v10, 4, v1
	s_clause 0x1
	global_load_b128 v[56:59], v[44:45], off
	global_load_b128 v[52:55], v9, s[10:11]
	v_lshlrev_b32_e32 v9, 4, v2
	s_clause 0x1
	global_load_b128 v[68:71], v10, s[10:11]
	global_load_b128 v[60:63], v9, s[10:11]
	v_lshlrev_b32_e32 v12, 4, v5
	v_lshrrev_b16 v9, 1, v11
	v_cmp_lt_u16_e64 s0, 10, v157
	v_and_b32_e32 v4, 0xffff, v4
	v_and_b32_e32 v6, 0xffff, v6
	global_load_b128 v[64:67], v12, s[10:11]
	v_and_b32_e32 v9, 0x7f, v9
	v_and_b32_e32 v7, 0xffff, v7
	v_mad_u16 v0, v3, 22, v0
	v_mul_u32_u24_e32 v3, 22, v4
	v_mul_u32_u24_e32 v4, 22, v6
	v_add_nc_u16 v8, v9, v8
	v_mul_u32_u24_e32 v6, 22, v7
	v_and_b32_e32 v0, 0xff, v0
	v_add_nc_u32_e32 v1, v3, v1
	v_add_nc_u32_e32 v2, v4, v2
	v_lshrrev_b16 v8, 3, v8
	v_add_nc_u32_e32 v3, v6, v5
	v_lshl_add_u32 v5, v0, 4, v159
	v_lshl_add_u32 v4, v1, 4, v159
	;; [unrolled: 1-line block ×3, first 2 shown]
	v_mul_lo_u16 v8, v8, 11
	v_lshl_add_u32 v0, v3, 4, v159
	s_delay_alu instid0(VALU_DEP_2) | instskip(NEXT) | instid1(VALU_DEP_1)
	v_sub_nc_u16 v8, v13, v8
	v_and_b32_e32 v8, 0xff, v8
	scratch_store_b32 off, v8, off offset:176 ; 4-byte Folded Spill
	v_lshlrev_b32_e32 v8, 4, v8
	global_load_b128 v[8:11], v8, s[10:11]
	s_wait_loadcnt_dscnt 0x503
	v_mul_f64_e32 v[120:121], v[114:115], v[58:59]
	v_mul_f64_e32 v[122:123], v[112:113], v[58:59]
	s_wait_loadcnt 0x4
	v_mul_f64_e32 v[125:126], v[98:99], v[54:55]
	v_mul_f64_e32 v[127:128], v[96:97], v[54:55]
	s_wait_loadcnt 0x3
	v_mul_f64_e32 v[129:130], v[102:103], v[70:71]
	v_mul_f64_e32 v[131:132], v[100:101], v[70:71]
	s_wait_loadcnt_dscnt 0x201
	v_mul_f64_e32 v[133:134], v[110:111], v[62:63]
	v_mul_f64_e32 v[135:136], v[108:109], v[62:63]
	s_wait_loadcnt_dscnt 0x100
	v_mul_f64_e32 v[137:138], v[106:107], v[66:67]
	v_mul_f64_e32 v[139:140], v[104:105], v[66:67]
	v_fma_f64 v[112:113], v[112:113], v[56:57], -v[120:121]
	v_fma_f64 v[114:115], v[114:115], v[56:57], v[122:123]
	v_fma_f64 v[120:121], v[96:97], v[52:53], -v[125:126]
	v_fma_f64 v[122:123], v[98:99], v[52:53], v[127:128]
	;; [unrolled: 2-line block ×4, first 2 shown]
	s_wait_loadcnt 0x0
	v_mul_f64_e32 v[133:134], v[94:95], v[10:11]
	v_fma_f64 v[129:130], v[104:105], v[64:65], -v[137:138]
	v_fma_f64 v[131:132], v[106:107], v[64:65], v[139:140]
	v_mul_f64_e32 v[135:136], v[92:93], v[10:11]
	scratch_store_b128 off, v[8:11], off offset:200 ; 16-byte Folded Spill
	global_wb scope:SCOPE_SE
	s_wait_storecnt 0x0
	s_barrier_signal -1
	s_barrier_wait -1
	global_inv scope:SCOPE_SE
	v_add_f64_e64 v[96:97], v[76:77], -v[112:113]
	v_add_f64_e64 v[98:99], v[78:79], -v[114:115]
	;; [unrolled: 1-line block ×8, first 2 shown]
	v_fma_f64 v[120:121], v[92:93], v[8:9], -v[133:134]
	v_add_f64_e64 v[112:113], v[48:49], -v[129:130]
	v_add_f64_e64 v[114:115], v[50:51], -v[131:132]
	v_fma_f64 v[122:123], v[94:95], v[8:9], v[135:136]
	s_wait_alu 0xf1ff
	v_cndmask_b32_e64 v8, 0, 22, s0
	s_delay_alu instid0(VALU_DEP_1) | instskip(NEXT) | instid1(VALU_DEP_1)
	v_add_nc_u32_e32 v8, v119, v8
	v_lshl_add_u32 v7, v8, 4, v159
	scratch_store_b32 off, v7, off offset:196 ; 4-byte Folded Spill
	v_fma_f64 v[76:77], v[76:77], 2.0, -v[96:97]
	v_fma_f64 v[78:79], v[78:79], 2.0, -v[98:99]
	;; [unrolled: 1-line block ×10, first 2 shown]
	v_add_f64_e64 v[48:49], v[72:73], -v[120:121]
	v_add_f64_e64 v[50:51], v[74:75], -v[122:123]
	ds_store_b128 v7, v[76:79]
	ds_store_b128 v7, v[96:99] offset:176
	ds_store_b128 v5, v[80:83]
	scratch_store_b32 off, v5, off offset:192 ; 4-byte Folded Spill
	ds_store_b128 v5, v[100:103] offset:176
	ds_store_b128 v4, v[88:91]
	scratch_store_b32 off, v4, off offset:188 ; 4-byte Folded Spill
	;; [unrolled: 3-line block ×4, first 2 shown]
	ds_store_b128 v0, v[112:115] offset:176
	s_and_saveexec_b32 s0, vcc_lo
	s_cbranch_execz .LBB0_5
; %bb.4:
	scratch_load_b32 v0, off, off offset:176 ; 4-byte Folded Reload
	v_fma_f64 v[74:75], v[74:75], 2.0, -v[50:51]
	v_fma_f64 v[72:73], v[72:73], 2.0, -v[48:49]
	s_wait_loadcnt 0x0
	v_lshl_add_u32 v0, v0, 4, v159
	ds_store_b128 v0, v[72:75] offset:3520
	ds_store_b128 v0, v[48:51] offset:3696
.LBB0_5:
	s_wait_alu 0xfffe
	s_or_b32 exec_lo, exec_lo, s0
	v_mad_co_u64_u32 v[104:105], null, 0xa0, v157, s[10:11]
	global_wb scope:SCOPE_SE
	s_wait_storecnt_dscnt 0x0
	s_barrier_signal -1
	s_barrier_wait -1
	global_inv scope:SCOPE_SE
	s_mov_b32 s14, 0x8eee2c13
	s_mov_b32 s16, 0x43842ef
	s_clause 0x3
	global_load_b128 v[76:79], v[104:105], off offset:176
	global_load_b128 v[72:75], v[104:105], off offset:320
	;; [unrolled: 1-line block ×4, first 2 shown]
	ds_load_b128 v[92:95], v158 offset:352
	ds_load_b128 v[88:91], v158 offset:3520
	ds_load_b128 v[112:115], v158
	s_mov_b32 s10, 0xbb3a28a1
	s_mov_b32 s0, 0xfd768dbf
	;; [unrolled: 1-line block ×17, first 2 shown]
	s_wait_alu 0xfffe
	s_mov_b32 s28, s0
	s_mov_b32 s31, 0x3fefac9e
	s_mov_b32 s30, s16
	s_mov_b32 s35, 0x3fe14ced
	s_mov_b32 s34, s26
	s_mov_b32 s37, 0x3fed1bb4
	s_mov_b32 s36, s14
	s_add_nc_u64 s[8:9], s[8:9], 0xf20
	s_wait_loadcnt_dscnt 0x302
	v_mul_f64_e32 v[96:97], v[94:95], v[78:79]
	v_mul_f64_e32 v[98:99], v[92:93], v[78:79]
	s_wait_loadcnt_dscnt 0x201
	v_mul_f64_e32 v[102:103], v[90:91], v[74:75]
	v_mul_f64_e32 v[100:101], v[88:89], v[74:75]
	s_delay_alu instid0(VALU_DEP_4) | instskip(NEXT) | instid1(VALU_DEP_4)
	v_fma_f64 v[129:130], v[92:93], v[76:77], -v[96:97]
	v_fma_f64 v[131:132], v[94:95], v[76:77], v[98:99]
	ds_load_b128 v[92:95], v158 offset:704
	ds_load_b128 v[96:99], v158 offset:1056
	v_fma_f64 v[170:171], v[88:89], v[72:73], -v[102:103]
	v_fma_f64 v[153:154], v[90:91], v[72:73], v[100:101]
	s_wait_loadcnt_dscnt 0x101
	v_mul_f64_e32 v[88:89], v[94:95], v[82:83]
	v_add_f64_e32 v[214:215], v[112:113], v[129:130]
	v_add_f64_e32 v[216:217], v[114:115], v[131:132]
	;; [unrolled: 1-line block ×4, first 2 shown]
	v_fma_f64 v[172:173], v[92:93], v[80:81], -v[88:89]
	v_mul_f64_e32 v[88:89], v[92:93], v[82:83]
	s_delay_alu instid0(VALU_DEP_1) | instskip(SKIP_4) | instid1(VALU_DEP_1)
	v_fma_f64 v[174:175], v[94:95], v[80:81], v[88:89]
	ds_load_b128 v[88:91], v158 offset:3168
	ds_load_b128 v[106:109], v158 offset:2816
	s_wait_loadcnt_dscnt 0x1
	v_mul_f64_e32 v[92:93], v[88:89], v[86:87]
	v_fma_f64 v[176:177], v[90:91], v[84:85], v[92:93]
	v_mul_f64_e32 v[90:91], v[90:91], v[86:87]
	s_delay_alu instid0(VALU_DEP_2) | instskip(NEXT) | instid1(VALU_DEP_2)
	v_add_f64_e32 v[224:225], v[174:175], v[176:177]
	v_fma_f64 v[178:179], v[88:89], v[84:85], -v[90:91]
	s_clause 0x1
	global_load_b128 v[92:95], v[104:105], off offset:208
	global_load_b128 v[88:91], v[104:105], off offset:224
	v_add_f64_e32 v[220:221], v[172:173], v[178:179]
	s_wait_loadcnt 0x1
	v_mul_f64_e32 v[100:101], v[98:99], v[94:95]
	s_delay_alu instid0(VALU_DEP_1) | instskip(SKIP_1) | instid1(VALU_DEP_1)
	v_fma_f64 v[180:181], v[96:97], v[92:93], -v[100:101]
	v_mul_f64_e32 v[96:97], v[96:97], v[94:95]
	v_fma_f64 v[182:183], v[98:99], v[92:93], v[96:97]
	s_clause 0x1
	global_load_b128 v[100:103], v[104:105], off offset:288
	global_load_b128 v[96:99], v[104:105], off offset:272
	s_wait_loadcnt_dscnt 0x100
	v_mul_f64_e32 v[110:111], v[106:107], v[102:103]
	s_delay_alu instid0(VALU_DEP_1) | instskip(SKIP_1) | instid1(VALU_DEP_2)
	v_fma_f64 v[184:185], v[108:109], v[100:101], v[110:111]
	v_mul_f64_e32 v[108:109], v[108:109], v[102:103]
	v_add_f64_e64 v[228:229], v[182:183], -v[184:185]
	s_delay_alu instid0(VALU_DEP_2)
	v_fma_f64 v[186:187], v[106:107], v[100:101], -v[108:109]
	ds_load_b128 v[106:109], v158 offset:1408
	ds_load_b128 v[119:122], v158 offset:1760
	v_add_f64_e32 v[236:237], v[182:183], v[184:185]
	s_wait_dscnt 0x1
	v_mul_f64_e32 v[110:111], v[108:109], v[90:91]
	v_mul_f64_e32 v[232:233], s[16:17], v[228:229]
	v_add_f64_e32 v[230:231], v[180:181], v[186:187]
	v_add_f64_e64 v[234:235], v[180:181], -v[186:187]
	s_wait_alu 0xfffe
	v_mul_f64_e32 v[8:9], s[28:29], v[228:229]
	v_mul_f64_e32 v[24:25], s[36:37], v[228:229]
	v_fma_f64 v[188:189], v[106:107], v[88:89], -v[110:111]
	v_mul_f64_e32 v[106:107], v[106:107], v[90:91]
	v_mul_f64_e32 v[238:239], s[16:17], v[234:235]
	;; [unrolled: 1-line block ×3, first 2 shown]
	v_fma_f64 v[10:11], v[230:231], s[12:13], -v[8:9]
	v_mul_f64_e32 v[28:29], s[36:37], v[234:235]
	v_fma_f64 v[26:27], v[230:231], s[20:21], -v[24:25]
	v_mul_f64_e32 v[36:37], s[26:27], v[234:235]
	v_fma_f64 v[190:191], v[108:109], v[88:89], v[106:107]
	ds_load_b128 v[106:109], v158 offset:2464
	ds_load_b128 v[125:128], v158 offset:2112
	v_fma_f64 v[14:15], v[236:237], s[12:13], v[12:13]
	s_wait_loadcnt_dscnt 0x1
	v_mul_f64_e32 v[110:111], v[108:109], v[98:99]
	v_fma_f64 v[30:31], v[236:237], s[20:21], v[28:29]
	v_fma_f64 v[38:39], v[236:237], s[24:25], v[36:37]
	v_fma_f64 v[36:37], v[236:237], s[24:25], -v[36:37]
	s_delay_alu instid0(VALU_DEP_4) | instskip(SKIP_1) | instid1(VALU_DEP_2)
	v_fma_f64 v[192:193], v[106:107], v[96:97], -v[110:111]
	v_mul_f64_e32 v[106:107], v[106:107], v[98:99]
	v_add_f64_e32 v[242:243], v[188:189], v[192:193]
	s_delay_alu instid0(VALU_DEP_2)
	v_fma_f64 v[194:195], v[108:109], v[96:97], v[106:107]
	s_clause 0x1
	global_load_b128 v[108:111], v[104:105], off offset:240
	global_load_b128 v[104:107], v[104:105], off offset:256
	v_add_f64_e64 v[246:247], v[188:189], -v[192:193]
	v_add_f64_e64 v[240:241], v[190:191], -v[194:195]
	v_add_f64_e32 v[248:249], v[190:191], v[194:195]
	s_delay_alu instid0(VALU_DEP_3)
	v_mul_f64_e32 v[250:251], s[10:11], v[246:247]
	v_mul_f64_e32 v[16:17], s[30:31], v[246:247]
	;; [unrolled: 1-line block ×6, first 2 shown]
	v_fma_f64 v[18:19], v[248:249], s[22:23], v[16:17]
	v_fma_f64 v[34:35], v[248:249], s[24:25], v[32:33]
	;; [unrolled: 1-line block ×3, first 2 shown]
	s_delay_alu instid0(VALU_DEP_4) | instskip(SKIP_2) | instid1(VALU_DEP_1)
	v_fma_f64 v[42:43], v[242:243], s[12:13], -v[40:41]
	s_wait_loadcnt 0x1
	v_mul_f64_e32 v[133:134], v[121:122], v[110:111]
	v_fma_f64 v[196:197], v[119:120], v[108:109], -v[133:134]
	v_mul_f64_e32 v[119:120], v[119:120], v[110:111]
	s_delay_alu instid0(VALU_DEP_1) | instskip(SKIP_2) | instid1(VALU_DEP_1)
	v_fma_f64 v[198:199], v[121:122], v[108:109], v[119:120]
	s_wait_loadcnt_dscnt 0x0
	v_mul_f64_e32 v[119:120], v[127:128], v[106:107]
	v_fma_f64 v[200:201], v[125:126], v[104:105], -v[119:120]
	v_mul_f64_e32 v[119:120], v[125:126], v[106:107]
	s_delay_alu instid0(VALU_DEP_2) | instskip(NEXT) | instid1(VALU_DEP_2)
	v_add_f64_e64 v[162:163], v[196:197], -v[200:201]
	v_fma_f64 v[202:203], v[127:128], v[104:105], v[119:120]
	v_add_f64_e64 v[119:120], v[131:132], -v[153:154]
	v_add_f64_e32 v[254:255], v[196:197], v[200:201]
	s_delay_alu instid0(VALU_DEP_4) | instskip(NEXT) | instid1(VALU_DEP_4)
	v_mul_f64_e32 v[0:1], s[0:1], v[162:163]
	v_add_f64_e64 v[252:253], v[198:199], -v[202:203]
	s_delay_alu instid0(VALU_DEP_4)
	v_mul_f64_e32 v[121:122], s[26:27], v[119:120]
	v_mul_f64_e32 v[125:126], s[14:15], v[119:120]
	;; [unrolled: 1-line block ×5, first 2 shown]
	v_add_f64_e32 v[164:165], v[198:199], v[202:203]
	v_mul_f64_e32 v[160:161], s[0:1], v[252:253]
	v_fma_f64 v[137:138], v[135:136], s[24:25], -v[121:122]
	v_fma_f64 v[121:122], v[135:136], s[24:25], v[121:122]
	v_fma_f64 v[139:140], v[135:136], s[20:21], -v[125:126]
	v_fma_f64 v[125:126], v[135:136], s[20:21], v[125:126]
	;; [unrolled: 2-line block ×5, first 2 shown]
	v_add_f64_e64 v[135:136], v[129:130], -v[170:171]
	v_fma_f64 v[2:3], v[164:165], s[12:13], -v[0:1]
	v_fma_f64 v[0:1], v[164:165], s[12:13], v[0:1]
	v_add_f64_e32 v[121:122], v[112:113], v[121:122]
	v_add_f64_e32 v[131:132], v[112:113], v[139:140]
	v_mul_f64_e32 v[147:148], s[26:27], v[135:136]
	v_mul_f64_e32 v[149:150], s[14:15], v[135:136]
	;; [unrolled: 1-line block ×5, first 2 shown]
	v_fma_f64 v[212:213], v[168:169], s[24:25], -v[147:148]
	v_fma_f64 v[147:148], v[168:169], s[24:25], v[147:148]
	v_fma_f64 v[204:205], v[168:169], s[20:21], v[149:150]
	;; [unrolled: 1-line block ×4, first 2 shown]
	v_fma_f64 v[135:136], v[168:169], s[12:13], -v[135:136]
	v_fma_f64 v[208:209], v[168:169], s[18:19], v[166:167]
	v_fma_f64 v[149:150], v[168:169], s[20:21], -v[149:150]
	v_fma_f64 v[151:152], v[168:169], s[22:23], -v[151:152]
	;; [unrolled: 1-line block ×3, first 2 shown]
	v_add_f64_e32 v[168:169], v[112:113], v[137:138]
	v_add_f64_e32 v[129:130], v[114:115], v[212:213]
	;; [unrolled: 1-line block ×3, first 2 shown]
	v_add_f64_e64 v[147:148], v[172:173], -v[178:179]
	v_add_f64_e32 v[137:138], v[114:115], v[204:205]
	v_add_f64_e32 v[204:205], v[112:113], v[125:126]
	;; [unrolled: 1-line block ×3, first 2 shown]
	v_add_f64_e64 v[135:136], v[174:175], -v[176:177]
	v_add_f64_e32 v[125:126], v[112:113], v[141:142]
	v_add_f64_e32 v[139:140], v[114:115], v[206:207]
	;; [unrolled: 1-line block ×12, first 2 shown]
	v_fma_f64 v[119:120], v[230:231], s[22:23], v[232:233]
	v_mul_f64_e32 v[226:227], s[14:15], v[147:148]
	v_mul_f64_e32 v[4:5], s[10:11], v[147:148]
	;; [unrolled: 1-line block ×4, first 2 shown]
	s_delay_alu instid0(VALU_DEP_4) | instskip(NEXT) | instid1(VALU_DEP_4)
	v_fma_f64 v[114:115], v[224:225], s[20:21], -v[226:227]
	v_fma_f64 v[6:7], v[224:225], s[18:19], v[4:5]
	s_delay_alu instid0(VALU_DEP_4)
	v_fma_f64 v[22:23], v[224:225], s[12:13], v[20:21]
	v_fma_f64 v[20:21], v[224:225], s[12:13], -v[20:21]
	v_fma_f64 v[112:113], v[220:221], s[20:21], v[222:223]
	v_fma_f64 v[4:5], v[224:225], s[18:19], -v[4:5]
	v_add_f64_e32 v[114:115], v[114:115], v[129:130]
	v_add_f64_e32 v[6:7], v[6:7], v[137:138]
	;; [unrolled: 1-line block ×3, first 2 shown]
	v_mul_f64_e32 v[139:140], s[10:11], v[228:229]
	v_add_f64_e32 v[112:113], v[112:113], v[121:122]
	v_add_f64_e32 v[20:21], v[20:21], v[151:152]
	;; [unrolled: 1-line block ×4, first 2 shown]
	v_mul_f64_e32 v[14:15], s[30:31], v[240:241]
	v_add_f64_e32 v[22:23], v[30:31], v[22:23]
	v_add_f64_e32 v[112:113], v[119:120], v[112:113]
	v_fma_f64 v[119:120], v[236:237], s[22:23], -v[238:239]
	v_mul_f64_e32 v[30:31], s[26:27], v[240:241]
	v_add_f64_e32 v[6:7], v[18:19], v[6:7]
	v_mul_f64_e32 v[18:19], s[34:35], v[252:253]
	v_add_f64_e32 v[22:23], v[34:35], v[22:23]
	;; [unrolled: 2-line block ×3, first 2 shown]
	v_fma_f64 v[119:120], v[242:243], s[18:19], v[244:245]
	s_delay_alu instid0(VALU_DEP_1) | instskip(SKIP_1) | instid1(VALU_DEP_1)
	v_add_f64_e32 v[112:113], v[119:120], v[112:113]
	v_fma_f64 v[119:120], v[248:249], s[18:19], -v[250:251]
	v_add_f64_e32 v[114:115], v[119:120], v[114:115]
	v_fma_f64 v[119:120], v[254:255], s[12:13], v[160:161]
	s_delay_alu instid0(VALU_DEP_2) | instskip(SKIP_1) | instid1(VALU_DEP_3)
	v_add_f64_e32 v[114:115], v[2:3], v[114:115]
	v_mul_f64_e32 v[2:3], s[10:11], v[135:136]
	v_add_f64_e32 v[112:113], v[119:120], v[112:113]
	s_delay_alu instid0(VALU_DEP_2) | instskip(SKIP_1) | instid1(VALU_DEP_2)
	v_fma_f64 v[119:120], v[220:221], s[18:19], -v[2:3]
	v_fma_f64 v[2:3], v[220:221], s[18:19], v[2:3]
	v_add_f64_e32 v[119:120], v[119:120], v[131:132]
	s_delay_alu instid0(VALU_DEP_2) | instskip(NEXT) | instid1(VALU_DEP_2)
	v_add_f64_e32 v[2:3], v[2:3], v[204:205]
	v_add_f64_e32 v[10:11], v[10:11], v[119:120]
	v_fma_f64 v[119:120], v[242:243], s[22:23], -v[14:15]
	s_delay_alu instid0(VALU_DEP_1) | instskip(SKIP_1) | instid1(VALU_DEP_1)
	v_add_f64_e32 v[10:11], v[119:120], v[10:11]
	v_fma_f64 v[119:120], v[254:255], s[24:25], -v[18:19]
	v_add_f64_e32 v[119:120], v[119:120], v[10:11]
	v_mul_f64_e32 v[10:11], s[34:35], v[162:163]
	s_delay_alu instid0(VALU_DEP_1) | instskip(NEXT) | instid1(VALU_DEP_1)
	v_fma_f64 v[121:122], v[164:165], s[24:25], v[10:11]
	v_add_f64_e32 v[121:122], v[121:122], v[6:7]
	v_mul_f64_e32 v[6:7], s[28:29], v[135:136]
	s_delay_alu instid0(VALU_DEP_1) | instskip(SKIP_1) | instid1(VALU_DEP_2)
	v_fma_f64 v[127:128], v[220:221], s[12:13], -v[6:7]
	v_fma_f64 v[6:7], v[220:221], s[12:13], v[6:7]
	v_add_f64_e32 v[125:126], v[127:128], v[125:126]
	s_delay_alu instid0(VALU_DEP_2) | instskip(NEXT) | instid1(VALU_DEP_2)
	v_add_f64_e32 v[6:7], v[6:7], v[206:207]
	v_add_f64_e32 v[26:27], v[26:27], v[125:126]
	v_fma_f64 v[125:126], v[242:243], s[24:25], -v[30:31]
	s_delay_alu instid0(VALU_DEP_1) | instskip(SKIP_1) | instid1(VALU_DEP_1)
	v_add_f64_e32 v[26:27], v[125:126], v[26:27]
	v_fma_f64 v[125:126], v[254:255], s[18:19], -v[34:35]
	v_add_f64_e32 v[125:126], v[125:126], v[26:27]
	v_mul_f64_e32 v[26:27], s[10:11], v[162:163]
	s_delay_alu instid0(VALU_DEP_1) | instskip(NEXT) | instid1(VALU_DEP_1)
	v_fma_f64 v[127:128], v[164:165], s[18:19], v[26:27]
	v_add_f64_e32 v[127:128], v[127:128], v[22:23]
	v_mul_f64_e32 v[22:23], s[30:31], v[135:136]
	s_delay_alu instid0(VALU_DEP_1) | instskip(SKIP_1) | instid1(VALU_DEP_2)
	v_fma_f64 v[129:130], v[220:221], s[22:23], -v[22:23]
	v_fma_f64 v[22:23], v[220:221], s[22:23], v[22:23]
	v_add_f64_e32 v[129:130], v[129:130], v[141:142]
	v_mul_f64_e32 v[141:142], s[30:31], v[147:148]
	s_delay_alu instid0(VALU_DEP_3) | instskip(NEXT) | instid1(VALU_DEP_2)
	v_add_f64_e32 v[22:23], v[22:23], v[208:209]
	v_fma_f64 v[131:132], v[224:225], s[22:23], v[141:142]
	s_delay_alu instid0(VALU_DEP_1) | instskip(SKIP_1) | instid1(VALU_DEP_2)
	v_add_f64_e32 v[131:132], v[131:132], v[143:144]
	v_mul_f64_e32 v[143:144], s[26:27], v[228:229]
	v_add_f64_e32 v[38:39], v[38:39], v[131:132]
	s_delay_alu instid0(VALU_DEP_2) | instskip(NEXT) | instid1(VALU_DEP_2)
	v_fma_f64 v[137:138], v[230:231], s[24:25], -v[143:144]
	v_add_f64_e32 v[38:39], v[46:47], v[38:39]
	s_delay_alu instid0(VALU_DEP_2) | instskip(SKIP_2) | instid1(VALU_DEP_3)
	v_add_f64_e32 v[129:130], v[137:138], v[129:130]
	v_mul_f64_e32 v[46:47], s[36:37], v[252:253]
	v_mul_f64_e32 v[137:138], s[34:35], v[147:148]
	v_add_f64_e32 v[42:43], v[42:43], v[129:130]
	s_delay_alu instid0(VALU_DEP_3) | instskip(NEXT) | instid1(VALU_DEP_1)
	v_fma_f64 v[129:130], v[254:255], s[20:21], -v[46:47]
	v_add_f64_e32 v[129:130], v[129:130], v[42:43]
	v_mul_f64_e32 v[42:43], s[36:37], v[162:163]
	v_mul_f64_e32 v[162:163], s[16:17], v[162:163]
	s_delay_alu instid0(VALU_DEP_2) | instskip(NEXT) | instid1(VALU_DEP_1)
	v_fma_f64 v[131:132], v[164:165], s[20:21], v[42:43]
	v_add_f64_e32 v[131:132], v[131:132], v[38:39]
	v_mul_f64_e32 v[38:39], s[34:35], v[135:136]
	s_delay_alu instid0(VALU_DEP_1) | instskip(SKIP_1) | instid1(VALU_DEP_2)
	v_fma_f64 v[135:136], v[220:221], s[24:25], -v[38:39]
	v_fma_f64 v[38:39], v[220:221], s[24:25], v[38:39]
	v_add_f64_e32 v[133:134], v[135:136], v[133:134]
	v_fma_f64 v[135:136], v[224:225], s[24:25], v[137:138]
	s_delay_alu instid0(VALU_DEP_3) | instskip(SKIP_1) | instid1(VALU_DEP_3)
	v_add_f64_e32 v[38:39], v[38:39], v[210:211]
	v_fma_f64 v[137:138], v[224:225], s[24:25], -v[137:138]
	v_add_f64_e32 v[135:136], v[135:136], v[145:146]
	v_fma_f64 v[145:146], v[230:231], s[18:19], -v[139:140]
	v_fma_f64 v[139:140], v[230:231], s[18:19], v[139:140]
	s_delay_alu instid0(VALU_DEP_4) | instskip(NEXT) | instid1(VALU_DEP_3)
	v_add_f64_e32 v[137:138], v[137:138], v[212:213]
	v_add_f64_e32 v[133:134], v[145:146], v[133:134]
	v_mul_f64_e32 v[145:146], s[10:11], v[234:235]
	s_delay_alu instid0(VALU_DEP_4) | instskip(NEXT) | instid1(VALU_DEP_2)
	v_add_f64_e32 v[38:39], v[139:140], v[38:39]
	v_fma_f64 v[147:148], v[236:237], s[18:19], v[145:146]
	v_fma_f64 v[139:140], v[236:237], s[18:19], -v[145:146]
	v_fma_f64 v[145:146], v[164:165], s[22:23], -v[162:163]
	s_delay_alu instid0(VALU_DEP_3) | instskip(SKIP_1) | instid1(VALU_DEP_4)
	v_add_f64_e32 v[135:136], v[147:148], v[135:136]
	v_mul_f64_e32 v[147:148], s[36:37], v[240:241]
	v_add_f64_e32 v[137:138], v[139:140], v[137:138]
	s_delay_alu instid0(VALU_DEP_2) | instskip(SKIP_1) | instid1(VALU_DEP_2)
	v_fma_f64 v[228:229], v[242:243], s[20:21], -v[147:148]
	v_fma_f64 v[139:140], v[242:243], s[20:21], v[147:148]
	v_add_f64_e32 v[133:134], v[228:229], v[133:134]
	v_mul_f64_e32 v[228:229], s[36:37], v[246:247]
	s_delay_alu instid0(VALU_DEP_3) | instskip(NEXT) | instid1(VALU_DEP_2)
	v_add_f64_e32 v[38:39], v[139:140], v[38:39]
	v_fma_f64 v[234:235], v[248:249], s[20:21], v[228:229]
	v_fma_f64 v[139:140], v[248:249], s[20:21], -v[228:229]
	s_delay_alu instid0(VALU_DEP_2) | instskip(SKIP_1) | instid1(VALU_DEP_3)
	v_add_f64_e32 v[135:136], v[234:235], v[135:136]
	v_mul_f64_e32 v[234:235], s[16:17], v[252:253]
	v_add_f64_e32 v[139:140], v[139:140], v[137:138]
	s_delay_alu instid0(VALU_DEP_2) | instskip(NEXT) | instid1(VALU_DEP_2)
	v_fma_f64 v[137:138], v[254:255], s[22:23], v[234:235]
	v_add_f64_e32 v[139:140], v[145:146], v[139:140]
	v_fma_f64 v[240:241], v[254:255], s[22:23], -v[234:235]
	s_delay_alu instid0(VALU_DEP_3) | instskip(SKIP_2) | instid1(VALU_DEP_4)
	v_add_f64_e32 v[137:138], v[137:138], v[38:39]
	v_fma_f64 v[38:39], v[224:225], s[22:23], -v[141:142]
	v_fma_f64 v[141:142], v[230:231], s[24:25], v[143:144]
	v_add_f64_e32 v[133:134], v[240:241], v[133:134]
	v_fma_f64 v[240:241], v[164:165], s[22:23], v[162:163]
	s_delay_alu instid0(VALU_DEP_4) | instskip(NEXT) | instid1(VALU_DEP_4)
	v_add_f64_e32 v[38:39], v[38:39], v[166:167]
	v_add_f64_e32 v[22:23], v[141:142], v[22:23]
	s_delay_alu instid0(VALU_DEP_3) | instskip(NEXT) | instid1(VALU_DEP_3)
	v_add_f64_e32 v[135:136], v[240:241], v[135:136]
	v_add_f64_e32 v[36:37], v[36:37], v[38:39]
	v_fma_f64 v[38:39], v[242:243], s[12:13], v[40:41]
	v_fma_f64 v[40:41], v[164:165], s[20:21], -v[42:43]
	s_delay_alu instid0(VALU_DEP_2) | instskip(SKIP_1) | instid1(VALU_DEP_1)
	v_add_f64_e32 v[22:23], v[38:39], v[22:23]
	v_fma_f64 v[38:39], v[248:249], s[12:13], -v[44:45]
	v_add_f64_e32 v[36:37], v[38:39], v[36:37]
	v_fma_f64 v[38:39], v[254:255], s[20:21], v[46:47]
	s_delay_alu instid0(VALU_DEP_2) | instskip(NEXT) | instid1(VALU_DEP_2)
	v_add_f64_e32 v[143:144], v[40:41], v[36:37]
	v_add_f64_e32 v[141:142], v[38:39], v[22:23]
	v_fma_f64 v[22:23], v[230:231], s[20:21], v[24:25]
	v_fma_f64 v[24:25], v[164:165], s[18:19], -v[26:27]
	s_delay_alu instid0(VALU_DEP_2) | instskip(SKIP_1) | instid1(VALU_DEP_1)
	v_add_f64_e32 v[6:7], v[22:23], v[6:7]
	v_fma_f64 v[22:23], v[236:237], s[20:21], -v[28:29]
	v_add_f64_e32 v[20:21], v[22:23], v[20:21]
	v_fma_f64 v[22:23], v[242:243], s[24:25], v[30:31]
	s_delay_alu instid0(VALU_DEP_1) | instskip(SKIP_1) | instid1(VALU_DEP_1)
	v_add_f64_e32 v[6:7], v[22:23], v[6:7]
	v_fma_f64 v[22:23], v[248:249], s[24:25], -v[32:33]
	v_add_f64_e32 v[20:21], v[22:23], v[20:21]
	v_fma_f64 v[22:23], v[254:255], s[18:19], v[34:35]
	s_delay_alu instid0(VALU_DEP_2) | instskip(NEXT) | instid1(VALU_DEP_2)
	v_add_f64_e32 v[147:148], v[24:25], v[20:21]
	v_add_f64_e32 v[145:146], v[22:23], v[6:7]
	v_fma_f64 v[6:7], v[230:231], s[12:13], v[8:9]
	v_fma_f64 v[8:9], v[164:165], s[24:25], -v[10:11]
	v_fma_f64 v[10:11], v[242:243], s[18:19], -v[244:245]
	s_delay_alu instid0(VALU_DEP_3) | instskip(SKIP_2) | instid1(VALU_DEP_2)
	v_add_f64_e32 v[2:3], v[6:7], v[2:3]
	v_fma_f64 v[6:7], v[236:237], s[12:13], -v[12:13]
	v_fma_f64 v[12:13], v[248:249], s[18:19], v[250:251]
	v_add_f64_e32 v[4:5], v[6:7], v[4:5]
	v_fma_f64 v[6:7], v[242:243], s[22:23], v[14:15]
	s_delay_alu instid0(VALU_DEP_1) | instskip(SKIP_1) | instid1(VALU_DEP_1)
	v_add_f64_e32 v[2:3], v[6:7], v[2:3]
	v_fma_f64 v[6:7], v[248:249], s[22:23], -v[16:17]
	v_add_f64_e32 v[4:5], v[6:7], v[4:5]
	v_fma_f64 v[6:7], v[254:255], s[24:25], v[18:19]
	s_delay_alu instid0(VALU_DEP_2) | instskip(NEXT) | instid1(VALU_DEP_2)
	v_add_f64_e32 v[151:152], v[8:9], v[4:5]
	v_add_f64_e32 v[149:150], v[6:7], v[2:3]
	v_fma_f64 v[2:3], v[220:221], s[20:21], -v[222:223]
	v_fma_f64 v[4:5], v[224:225], s[20:21], v[226:227]
	v_fma_f64 v[6:7], v[230:231], s[22:23], -v[232:233]
	v_fma_f64 v[8:9], v[236:237], s[22:23], v[238:239]
	s_delay_alu instid0(VALU_DEP_4) | instskip(NEXT) | instid1(VALU_DEP_4)
	v_add_f64_e32 v[2:3], v[2:3], v[168:169]
	v_add_f64_e32 v[4:5], v[4:5], v[218:219]
	s_delay_alu instid0(VALU_DEP_2) | instskip(NEXT) | instid1(VALU_DEP_2)
	v_add_f64_e32 v[2:3], v[6:7], v[2:3]
	v_add_f64_e32 v[4:5], v[8:9], v[4:5]
	v_fma_f64 v[6:7], v[254:255], s[12:13], -v[160:161]
	s_delay_alu instid0(VALU_DEP_3) | instskip(NEXT) | instid1(VALU_DEP_3)
	v_add_f64_e32 v[2:3], v[10:11], v[2:3]
	v_add_f64_e32 v[4:5], v[12:13], v[4:5]
	s_delay_alu instid0(VALU_DEP_2) | instskip(NEXT) | instid1(VALU_DEP_2)
	v_add_f64_e32 v[166:167], v[6:7], v[2:3]
	v_add_f64_e32 v[168:169], v[0:1], v[4:5]
	;; [unrolled: 1-line block ×4, first 2 shown]
	s_delay_alu instid0(VALU_DEP_2) | instskip(NEXT) | instid1(VALU_DEP_2)
	v_add_f64_e32 v[0:1], v[0:1], v[180:181]
	v_add_f64_e32 v[2:3], v[2:3], v[182:183]
	s_delay_alu instid0(VALU_DEP_2) | instskip(NEXT) | instid1(VALU_DEP_2)
	v_add_f64_e32 v[0:1], v[0:1], v[188:189]
	v_add_f64_e32 v[2:3], v[2:3], v[190:191]
	;; [unrolled: 3-line block ×8, first 2 shown]
	ds_store_b128 v158, v[119:122] offset:704
	ds_store_b128 v158, v[125:128] offset:1056
	;; [unrolled: 1-line block ×10, first 2 shown]
	ds_store_b128 v158, v[170:173]
	global_wb scope:SCOPE_SE
	s_wait_dscnt 0x0
	s_barrier_signal -1
	s_barrier_wait -1
	global_inv scope:SCOPE_SE
	global_load_b128 v[112:115], v[116:117], off offset:3872
	ds_load_b128 v[119:122], v158
	ds_load_b128 v[125:128], v158 offset:352
	s_wait_loadcnt_dscnt 0x1
	v_mul_f64_e32 v[0:1], v[121:122], v[114:115]
	v_mul_f64_e32 v[2:3], v[119:120], v[114:115]
	s_delay_alu instid0(VALU_DEP_2) | instskip(NEXT) | instid1(VALU_DEP_2)
	v_fma_f64 v[114:115], v[119:120], v[112:113], -v[0:1]
	v_fma_f64 v[116:117], v[121:122], v[112:113], v[2:3]
	s_clause 0x1
	global_load_b128 v[119:122], v118, s[8:9] offset:352
	global_load_b128 v[129:132], v118, s[8:9] offset:704
	s_wait_loadcnt_dscnt 0x100
	v_mul_f64_e32 v[0:1], v[127:128], v[121:122]
	v_mul_f64_e32 v[2:3], v[125:126], v[121:122]
	s_delay_alu instid0(VALU_DEP_2) | instskip(NEXT) | instid1(VALU_DEP_2)
	v_fma_f64 v[125:126], v[125:126], v[119:120], -v[0:1]
	v_fma_f64 v[127:128], v[127:128], v[119:120], v[2:3]
	ds_load_b128 v[119:122], v158 offset:704
	ds_load_b128 v[133:136], v158 offset:1056
	s_wait_loadcnt_dscnt 0x1
	v_mul_f64_e32 v[0:1], v[121:122], v[131:132]
	v_mul_f64_e32 v[2:3], v[119:120], v[131:132]
	s_delay_alu instid0(VALU_DEP_2) | instskip(NEXT) | instid1(VALU_DEP_2)
	v_fma_f64 v[119:120], v[119:120], v[129:130], -v[0:1]
	v_fma_f64 v[121:122], v[121:122], v[129:130], v[2:3]
	s_clause 0x1
	global_load_b128 v[129:132], v118, s[8:9] offset:1056
	global_load_b128 v[137:140], v118, s[8:9] offset:1408
	ds_load_b128 v[141:144], v158 offset:1408
	ds_load_b128 v[145:148], v158 offset:1760
	s_wait_loadcnt_dscnt 0x102
	v_mul_f64_e32 v[0:1], v[135:136], v[131:132]
	v_mul_f64_e32 v[2:3], v[133:134], v[131:132]
	s_delay_alu instid0(VALU_DEP_2) | instskip(SKIP_2) | instid1(VALU_DEP_3)
	v_fma_f64 v[131:132], v[133:134], v[129:130], -v[0:1]
	s_wait_loadcnt_dscnt 0x1
	v_mul_f64_e32 v[0:1], v[143:144], v[139:140]
	v_fma_f64 v[133:134], v[135:136], v[129:130], v[2:3]
	v_mul_f64_e32 v[2:3], v[141:142], v[139:140]
	s_delay_alu instid0(VALU_DEP_3)
	v_fma_f64 v[135:136], v[141:142], v[137:138], -v[0:1]
	s_clause 0x1
	global_load_b128 v[139:142], v118, s[8:9] offset:1760
	global_load_b128 v[149:152], v118, s[8:9] offset:2112
	v_fma_f64 v[137:138], v[143:144], v[137:138], v[2:3]
	s_wait_loadcnt_dscnt 0x100
	v_mul_f64_e32 v[0:1], v[147:148], v[141:142]
	v_mul_f64_e32 v[2:3], v[145:146], v[141:142]
	s_delay_alu instid0(VALU_DEP_2) | instskip(NEXT) | instid1(VALU_DEP_2)
	v_fma_f64 v[141:142], v[145:146], v[139:140], -v[0:1]
	v_fma_f64 v[143:144], v[147:148], v[139:140], v[2:3]
	ds_load_b128 v[145:148], v158 offset:2112
	ds_load_b128 v[166:169], v158 offset:2464
	s_wait_loadcnt_dscnt 0x1
	v_mul_f64_e32 v[0:1], v[147:148], v[151:152]
	v_mul_f64_e32 v[2:3], v[145:146], v[151:152]
	s_delay_alu instid0(VALU_DEP_2) | instskip(NEXT) | instid1(VALU_DEP_2)
	v_fma_f64 v[145:146], v[145:146], v[149:150], -v[0:1]
	v_fma_f64 v[147:148], v[147:148], v[149:150], v[2:3]
	s_clause 0x1
	global_load_b128 v[149:152], v118, s[8:9] offset:2464
	global_load_b128 v[170:173], v118, s[8:9] offset:2816
	s_wait_loadcnt_dscnt 0x100
	v_mul_f64_e32 v[0:1], v[168:169], v[151:152]
	v_mul_f64_e32 v[2:3], v[166:167], v[151:152]
	s_delay_alu instid0(VALU_DEP_2) | instskip(NEXT) | instid1(VALU_DEP_2)
	v_fma_f64 v[151:152], v[166:167], v[149:150], -v[0:1]
	v_fma_f64 v[153:154], v[168:169], v[149:150], v[2:3]
	ds_load_b128 v[166:169], v158 offset:2816
	ds_load_b128 v[174:177], v158 offset:3168
	s_wait_loadcnt_dscnt 0x1
	v_mul_f64_e32 v[0:1], v[168:169], v[172:173]
	v_mul_f64_e32 v[2:3], v[166:167], v[172:173]
	s_delay_alu instid0(VALU_DEP_2) | instskip(NEXT) | instid1(VALU_DEP_2)
	v_fma_f64 v[166:167], v[166:167], v[170:171], -v[0:1]
	v_fma_f64 v[168:169], v[168:169], v[170:171], v[2:3]
	s_clause 0x1
	global_load_b128 v[170:173], v118, s[8:9] offset:3168
	global_load_b128 v[178:181], v118, s[8:9] offset:3520
	ds_load_b128 v[182:185], v158 offset:3520
	s_mov_b32 s9, 0x3fe82f19
	s_mov_b32 s8, s10
	s_wait_loadcnt_dscnt 0x101
	v_mul_f64_e32 v[0:1], v[176:177], v[172:173]
	v_mul_f64_e32 v[2:3], v[174:175], v[172:173]
	s_delay_alu instid0(VALU_DEP_2) | instskip(NEXT) | instid1(VALU_DEP_2)
	v_fma_f64 v[172:173], v[174:175], v[170:171], -v[0:1]
	v_fma_f64 v[174:175], v[176:177], v[170:171], v[2:3]
	s_wait_loadcnt_dscnt 0x0
	v_mul_f64_e32 v[0:1], v[184:185], v[180:181]
	v_mul_f64_e32 v[2:3], v[182:183], v[180:181]
	s_delay_alu instid0(VALU_DEP_2) | instskip(NEXT) | instid1(VALU_DEP_2)
	v_fma_f64 v[176:177], v[182:183], v[178:179], -v[0:1]
	v_fma_f64 v[178:179], v[184:185], v[178:179], v[2:3]
	ds_store_b128 v158, v[114:117]
	ds_store_b128 v158, v[125:128] offset:352
	ds_store_b128 v158, v[119:122] offset:704
	;; [unrolled: 1-line block ×10, first 2 shown]
	global_wb scope:SCOPE_SE
	s_wait_dscnt 0x0
	s_barrier_signal -1
	s_barrier_wait -1
	global_inv scope:SCOPE_SE
	ds_load_b128 v[112:115], v158
	ds_load_b128 v[116:119], v158 offset:352
	ds_load_b128 v[120:123], v158 offset:704
	;; [unrolled: 1-line block ×7, first 2 shown]
	s_wait_dscnt 0x6
	v_add_f64_e32 v[0:1], v[112:113], v[116:117]
	v_add_f64_e32 v[2:3], v[114:115], v[118:119]
	s_wait_dscnt 0x1
	v_add_f64_e32 v[4:5], v[133:134], v[137:138]
	v_add_f64_e32 v[6:7], v[135:136], v[139:140]
	v_add_f64_e64 v[8:9], v[133:134], -v[137:138]
	v_add_f64_e64 v[10:11], v[135:136], -v[139:140]
	s_wait_dscnt 0x0
	v_add_f64_e32 v[12:13], v[129:130], v[141:142]
	v_add_f64_e32 v[14:15], v[131:132], v[143:144]
	v_add_f64_e64 v[16:17], v[131:132], -v[143:144]
	v_add_f64_e64 v[18:19], v[129:130], -v[141:142]
	v_add_f64_e32 v[0:1], v[0:1], v[120:121]
	v_add_f64_e32 v[2:3], v[2:3], v[122:123]
	v_mul_f64_e32 v[170:171], s[24:25], v[6:7]
	v_mul_f64_e32 v[186:187], s[18:19], v[6:7]
	;; [unrolled: 1-line block ×12, first 2 shown]
	v_add_f64_e32 v[0:1], v[0:1], v[125:126]
	v_add_f64_e32 v[2:3], v[2:3], v[127:128]
	s_delay_alu instid0(VALU_DEP_2) | instskip(NEXT) | instid1(VALU_DEP_2)
	v_add_f64_e32 v[0:1], v[0:1], v[129:130]
	v_add_f64_e32 v[2:3], v[2:3], v[131:132]
	s_delay_alu instid0(VALU_DEP_2) | instskip(NEXT) | instid1(VALU_DEP_2)
	v_add_f64_e32 v[0:1], v[0:1], v[133:134]
	v_add_f64_e32 v[2:3], v[2:3], v[135:136]
	ds_load_b128 v[129:132], v158 offset:2816
	ds_load_b128 v[133:136], v158 offset:3168
	s_wait_dscnt 0x1
	v_add_f64_e64 v[20:21], v[127:128], -v[131:132]
	s_wait_dscnt 0x0
	v_add_f64_e64 v[28:29], v[122:123], -v[135:136]
	v_add_f64_e32 v[30:31], v[122:123], v[135:136]
	v_add_f64_e32 v[32:33], v[120:121], v[133:134]
	v_add_f64_e64 v[34:35], v[120:121], -v[133:134]
	ds_load_b128 v[120:123], v158 offset:3520
	v_add_f64_e32 v[22:23], v[127:128], v[131:132]
	v_add_f64_e32 v[24:25], v[125:126], v[129:130]
	v_add_f64_e64 v[26:27], v[125:126], -v[129:130]
	global_wb scope:SCOPE_SE
	s_wait_dscnt 0x0
	s_barrier_signal -1
	s_barrier_wait -1
	global_inv scope:SCOPE_SE
	v_add_f64_e32 v[0:1], v[0:1], v[137:138]
	v_add_f64_e32 v[2:3], v[2:3], v[139:140]
	v_add_f64_e64 v[36:37], v[118:119], -v[122:123]
	v_add_f64_e32 v[38:39], v[118:119], v[122:123]
	v_add_f64_e32 v[40:41], v[116:117], v[120:121]
	v_add_f64_e64 v[42:43], v[116:117], -v[120:121]
	v_mul_f64_e32 v[160:161], s[28:29], v[20:21]
	v_mul_f64_e32 v[172:173], s[28:29], v[28:29]
	;; [unrolled: 1-line block ×10, first 2 shown]
	v_add_f64_e32 v[0:1], v[0:1], v[141:142]
	v_add_f64_e32 v[2:3], v[2:3], v[143:144]
	v_mul_f64_e32 v[44:45], s[16:17], v[36:37]
	v_mul_f64_e32 v[46:47], s[10:11], v[36:37]
	s_delay_alu instid0(VALU_DEP_4) | instskip(NEXT) | instid1(VALU_DEP_4)
	v_add_f64_e32 v[0:1], v[0:1], v[129:130]
	v_add_f64_e32 v[2:3], v[2:3], v[131:132]
	v_mul_f64_e32 v[131:132], s[22:23], v[38:39]
	v_fma_f64 v[125:126], v[40:41], s[22:23], v[44:45]
	v_fma_f64 v[44:45], v[40:41], s[22:23], -v[44:45]
	v_fma_f64 v[127:128], v[40:41], s[18:19], v[46:47]
	v_fma_f64 v[46:47], v[40:41], s[18:19], -v[46:47]
	v_add_f64_e32 v[0:1], v[0:1], v[133:134]
	v_add_f64_e32 v[2:3], v[2:3], v[135:136]
	v_mul_f64_e32 v[133:134], s[18:19], v[38:39]
	v_mul_f64_e32 v[135:136], s[12:13], v[38:39]
	v_fma_f64 v[139:140], v[42:43], s[30:31], v[131:132]
	v_fma_f64 v[131:132], v[42:43], s[16:17], v[131:132]
	v_add_f64_e32 v[125:126], v[112:113], v[125:126]
	v_add_f64_e32 v[44:45], v[112:113], v[44:45]
	;; [unrolled: 1-line block ×5, first 2 shown]
	v_mul_f64_e32 v[0:1], s[26:27], v[36:37]
	v_mul_f64_e32 v[2:3], s[14:15], v[36:37]
	;; [unrolled: 1-line block ×3, first 2 shown]
	s_wait_alu 0xfffe
	v_fma_f64 v[141:142], v[42:43], s[8:9], v[133:134]
	v_fma_f64 v[133:134], v[42:43], s[10:11], v[133:134]
	;; [unrolled: 1-line block ×4, first 2 shown]
	v_add_f64_e32 v[149:150], v[114:115], v[131:132]
	v_fma_f64 v[131:132], v[34:35], s[16:17], v[190:191]
	v_fma_f64 v[120:121], v[40:41], s[24:25], v[0:1]
	v_fma_f64 v[0:1], v[40:41], s[24:25], -v[0:1]
	v_fma_f64 v[122:123], v[40:41], s[20:21], v[2:3]
	v_fma_f64 v[2:3], v[40:41], s[20:21], -v[2:3]
	;; [unrolled: 2-line block ×3, first 2 shown]
	v_mul_f64_e32 v[40:41], s[20:21], v[38:39]
	v_mul_f64_e32 v[38:39], s[24:25], v[38:39]
	v_add_f64_e32 v[141:142], v[114:115], v[141:142]
	v_add_f64_e32 v[143:144], v[114:115], v[143:144]
	;; [unrolled: 1-line block ×6, first 2 shown]
	v_fma_f64 v[137:138], v[42:43], s[36:37], v[40:41]
	v_fma_f64 v[40:41], v[42:43], s[14:15], v[40:41]
	;; [unrolled: 1-line block ×4, first 2 shown]
	v_add_f64_e32 v[42:43], v[112:113], v[120:121]
	v_add_f64_e32 v[120:121], v[112:113], v[122:123]
	;; [unrolled: 1-line block ×3, first 2 shown]
	v_mul_f64_e32 v[141:142], s[26:27], v[20:21]
	v_add_f64_e32 v[122:123], v[114:115], v[137:138]
	v_add_f64_e32 v[137:138], v[114:115], v[139:140]
	;; [unrolled: 1-line block ×8, first 2 shown]
	v_mul_f64_e32 v[114:115], s[10:11], v[28:29]
	v_fma_f64 v[129:130], v[24:25], s[20:21], v[176:177]
	v_fma_f64 v[133:134], v[24:25], s[24:25], v[141:142]
	s_delay_alu instid0(VALU_DEP_3) | instskip(NEXT) | instid1(VALU_DEP_1)
	v_fma_f64 v[127:128], v[32:33], s[18:19], v[114:115]
	v_add_f64_e32 v[120:121], v[127:128], v[120:121]
	v_fma_f64 v[127:128], v[34:35], s[8:9], v[151:152]
	s_delay_alu instid0(VALU_DEP_1) | instskip(SKIP_1) | instid1(VALU_DEP_1)
	v_add_f64_e32 v[122:123], v[127:128], v[122:123]
	v_fma_f64 v[127:128], v[24:25], s[12:13], v[160:161]
	v_add_f64_e32 v[120:121], v[127:128], v[120:121]
	v_fma_f64 v[127:128], v[26:27], s[0:1], v[162:163]
	s_delay_alu instid0(VALU_DEP_1) | instskip(SKIP_1) | instid1(VALU_DEP_1)
	v_add_f64_e32 v[122:123], v[127:128], v[122:123]
	;; [unrolled: 5-line block ×4, first 2 shown]
	v_fma_f64 v[127:128], v[32:33], s[12:13], v[172:173]
	v_add_f64_e32 v[125:126], v[127:128], v[125:126]
	v_fma_f64 v[127:128], v[34:35], s[0:1], v[174:175]
	s_delay_alu instid0(VALU_DEP_2) | instskip(NEXT) | instid1(VALU_DEP_2)
	v_add_f64_e32 v[125:126], v[129:130], v[125:126]
	v_add_f64_e32 v[127:128], v[127:128], v[137:138]
	v_fma_f64 v[129:130], v[26:27], s[14:15], v[178:179]
	v_mul_f64_e32 v[137:138], s[34:35], v[28:29]
	s_delay_alu instid0(VALU_DEP_2) | instskip(SKIP_1) | instid1(VALU_DEP_1)
	v_add_f64_e32 v[127:128], v[129:130], v[127:128]
	v_fma_f64 v[129:130], v[12:13], s[24:25], v[180:181]
	v_add_f64_e32 v[125:126], v[129:130], v[125:126]
	v_fma_f64 v[129:130], v[18:19], s[34:35], v[182:183]
	s_delay_alu instid0(VALU_DEP_1) | instskip(SKIP_1) | instid1(VALU_DEP_1)
	v_add_f64_e32 v[127:128], v[129:130], v[127:128]
	v_fma_f64 v[129:130], v[4:5], s[18:19], v[184:185]
	v_add_f64_e32 v[125:126], v[129:130], v[125:126]
	v_fma_f64 v[129:130], v[8:9], s[8:9], v[186:187]
	s_delay_alu instid0(VALU_DEP_1) | instskip(SKIP_1) | instid1(VALU_DEP_1)
	v_add_f64_e32 v[127:128], v[129:130], v[127:128]
	v_fma_f64 v[129:130], v[32:33], s[22:23], v[188:189]
	v_add_f64_e32 v[129:130], v[129:130], v[139:140]
	v_mul_f64_e32 v[139:140], s[24:25], v[30:31]
	v_mul_f64_e32 v[30:31], s[20:21], v[30:31]
	s_delay_alu instid0(VALU_DEP_3) | instskip(SKIP_1) | instid1(VALU_DEP_4)
	v_add_f64_e32 v[129:130], v[133:134], v[129:130]
	v_fma_f64 v[133:134], v[26:27], s[34:35], v[192:193]
	v_fma_f64 v[135:136], v[34:35], s[26:27], v[139:140]
	s_delay_alu instid0(VALU_DEP_2) | instskip(SKIP_1) | instid1(VALU_DEP_3)
	v_add_f64_e32 v[131:132], v[133:134], v[131:132]
	v_fma_f64 v[133:134], v[12:13], s[12:13], v[194:195]
	v_add_f64_e32 v[135:136], v[135:136], v[143:144]
	v_mul_f64_e32 v[143:144], s[10:11], v[20:21]
	v_mul_f64_e32 v[20:21], s[16:17], v[20:21]
	s_delay_alu instid0(VALU_DEP_4) | instskip(SKIP_1) | instid1(VALU_DEP_1)
	v_add_f64_e32 v[129:130], v[133:134], v[129:130]
	v_fma_f64 v[133:134], v[18:19], s[28:29], v[196:197]
	v_add_f64_e32 v[131:132], v[133:134], v[131:132]
	v_fma_f64 v[133:134], v[4:5], s[20:21], v[198:199]
	s_delay_alu instid0(VALU_DEP_1) | instskip(SKIP_1) | instid1(VALU_DEP_1)
	v_add_f64_e32 v[129:130], v[133:134], v[129:130]
	v_fma_f64 v[133:134], v[8:9], s[14:15], v[200:201]
	v_add_f64_e32 v[131:132], v[133:134], v[131:132]
	v_fma_f64 v[133:134], v[32:33], s[24:25], v[137:138]
	v_fma_f64 v[137:138], v[32:33], s[24:25], -v[137:138]
	s_delay_alu instid0(VALU_DEP_2) | instskip(SKIP_1) | instid1(VALU_DEP_3)
	v_add_f64_e32 v[133:134], v[133:134], v[145:146]
	v_fma_f64 v[145:146], v[24:25], s[18:19], v[143:144]
	v_add_f64_e32 v[36:37], v[137:138], v[36:37]
	v_fma_f64 v[137:138], v[34:35], s[34:35], v[139:140]
	s_delay_alu instid0(VALU_DEP_3) | instskip(SKIP_1) | instid1(VALU_DEP_3)
	v_add_f64_e32 v[133:134], v[145:146], v[133:134]
	v_mul_f64_e32 v[145:146], s[18:19], v[22:23]
	v_add_f64_e32 v[112:113], v[137:138], v[112:113]
	v_fma_f64 v[137:138], v[24:25], s[18:19], -v[143:144]
	v_fma_f64 v[143:144], v[8:9], s[36:37], v[200:201]
	v_mul_f64_e32 v[22:23], s[22:23], v[22:23]
	v_fma_f64 v[202:203], v[26:27], s[8:9], v[145:146]
	s_delay_alu instid0(VALU_DEP_4) | instskip(SKIP_1) | instid1(VALU_DEP_3)
	v_add_f64_e32 v[36:37], v[137:138], v[36:37]
	v_fma_f64 v[137:138], v[26:27], s[10:11], v[145:146]
	v_add_f64_e32 v[135:136], v[202:203], v[135:136]
	v_mul_f64_e32 v[202:203], s[36:37], v[16:17]
	v_mul_f64_e32 v[16:17], s[10:11], v[16:17]
	s_delay_alu instid0(VALU_DEP_4) | instskip(NEXT) | instid1(VALU_DEP_3)
	v_add_f64_e32 v[112:113], v[137:138], v[112:113]
	v_fma_f64 v[204:205], v[12:13], s[20:21], v[202:203]
	v_fma_f64 v[137:138], v[12:13], s[20:21], -v[202:203]
	s_delay_alu instid0(VALU_DEP_2) | instskip(SKIP_1) | instid1(VALU_DEP_3)
	v_add_f64_e32 v[133:134], v[204:205], v[133:134]
	v_mul_f64_e32 v[204:205], s[20:21], v[14:15]
	v_add_f64_e32 v[36:37], v[137:138], v[36:37]
	v_mul_f64_e32 v[14:15], s[18:19], v[14:15]
	s_delay_alu instid0(VALU_DEP_3) | instskip(SKIP_1) | instid1(VALU_DEP_2)
	v_fma_f64 v[206:207], v[18:19], s[14:15], v[204:205]
	v_fma_f64 v[137:138], v[18:19], s[36:37], v[204:205]
	v_add_f64_e32 v[135:136], v[206:207], v[135:136]
	v_mul_f64_e32 v[206:207], s[16:17], v[10:11]
	s_delay_alu instid0(VALU_DEP_3) | instskip(SKIP_1) | instid1(VALU_DEP_3)
	v_add_f64_e32 v[112:113], v[137:138], v[112:113]
	v_mul_f64_e32 v[10:11], s[0:1], v[10:11]
	v_fma_f64 v[208:209], v[4:5], s[22:23], v[206:207]
	v_fma_f64 v[137:138], v[4:5], s[22:23], -v[206:207]
	s_delay_alu instid0(VALU_DEP_2) | instskip(SKIP_1) | instid1(VALU_DEP_3)
	v_add_f64_e32 v[133:134], v[208:209], v[133:134]
	v_mul_f64_e32 v[208:209], s[22:23], v[6:7]
	v_add_f64_e32 v[137:138], v[137:138], v[36:37]
	v_fma_f64 v[36:37], v[32:33], s[22:23], -v[188:189]
	v_mul_f64_e32 v[6:7], s[12:13], v[6:7]
	s_delay_alu instid0(VALU_DEP_4) | instskip(SKIP_1) | instid1(VALU_DEP_4)
	v_fma_f64 v[139:140], v[8:9], s[16:17], v[208:209]
	v_fma_f64 v[210:211], v[8:9], s[30:31], v[208:209]
	v_add_f64_e32 v[36:37], v[36:37], v[46:47]
	v_fma_f64 v[46:47], v[34:35], s[30:31], v[190:191]
	s_delay_alu instid0(VALU_DEP_4) | instskip(SKIP_2) | instid1(VALU_DEP_4)
	v_add_f64_e32 v[139:140], v[139:140], v[112:113]
	v_fma_f64 v[112:113], v[24:25], s[24:25], -v[141:142]
	v_add_f64_e32 v[135:136], v[210:211], v[135:136]
	v_add_f64_e32 v[46:47], v[46:47], v[147:148]
	s_delay_alu instid0(VALU_DEP_3) | instskip(SKIP_1) | instid1(VALU_DEP_1)
	v_add_f64_e32 v[36:37], v[112:113], v[36:37]
	v_fma_f64 v[112:113], v[26:27], s[26:27], v[192:193]
	v_add_f64_e32 v[46:47], v[112:113], v[46:47]
	v_fma_f64 v[112:113], v[12:13], s[12:13], -v[194:195]
	s_delay_alu instid0(VALU_DEP_1) | instskip(SKIP_1) | instid1(VALU_DEP_1)
	v_add_f64_e32 v[36:37], v[112:113], v[36:37]
	v_fma_f64 v[112:113], v[18:19], s[0:1], v[196:197]
	v_add_f64_e32 v[46:47], v[112:113], v[46:47]
	v_fma_f64 v[112:113], v[4:5], s[20:21], -v[198:199]
	s_delay_alu instid0(VALU_DEP_2) | instskip(NEXT) | instid1(VALU_DEP_2)
	v_add_f64_e32 v[143:144], v[143:144], v[46:47]
	v_add_f64_e32 v[141:142], v[112:113], v[36:37]
	v_fma_f64 v[36:37], v[32:33], s[12:13], -v[172:173]
	v_fma_f64 v[46:47], v[24:25], s[20:21], -v[176:177]
	v_fma_f64 v[112:113], v[8:9], s[10:11], v[186:187]
	s_delay_alu instid0(VALU_DEP_3) | instskip(SKIP_1) | instid1(VALU_DEP_2)
	v_add_f64_e32 v[36:37], v[36:37], v[44:45]
	v_fma_f64 v[44:45], v[34:35], s[28:29], v[174:175]
	v_add_f64_e32 v[36:37], v[46:47], v[36:37]
	s_delay_alu instid0(VALU_DEP_2) | instskip(SKIP_1) | instid1(VALU_DEP_1)
	v_add_f64_e32 v[44:45], v[44:45], v[149:150]
	v_fma_f64 v[46:47], v[26:27], s[36:37], v[178:179]
	v_add_f64_e32 v[44:45], v[46:47], v[44:45]
	v_fma_f64 v[46:47], v[12:13], s[24:25], -v[180:181]
	s_delay_alu instid0(VALU_DEP_1) | instskip(SKIP_1) | instid1(VALU_DEP_1)
	v_add_f64_e32 v[36:37], v[46:47], v[36:37]
	v_fma_f64 v[46:47], v[18:19], s[26:27], v[182:183]
	v_add_f64_e32 v[44:45], v[46:47], v[44:45]
	v_fma_f64 v[46:47], v[4:5], s[18:19], -v[184:185]
	s_delay_alu instid0(VALU_DEP_2) | instskip(NEXT) | instid1(VALU_DEP_2)
	v_add_f64_e32 v[147:148], v[112:113], v[44:45]
	v_add_f64_e32 v[145:146], v[46:47], v[36:37]
	v_fma_f64 v[36:37], v[32:33], s[18:19], -v[114:115]
	v_fma_f64 v[44:45], v[8:9], s[34:35], v[170:171]
	s_delay_alu instid0(VALU_DEP_2) | instskip(SKIP_1) | instid1(VALU_DEP_1)
	v_add_f64_e32 v[2:3], v[36:37], v[2:3]
	v_fma_f64 v[36:37], v[34:35], s[10:11], v[151:152]
	v_add_f64_e32 v[36:37], v[36:37], v[40:41]
	v_fma_f64 v[40:41], v[24:25], s[12:13], -v[160:161]
	s_delay_alu instid0(VALU_DEP_1) | instskip(SKIP_1) | instid1(VALU_DEP_1)
	v_add_f64_e32 v[2:3], v[40:41], v[2:3]
	v_fma_f64 v[40:41], v[26:27], s[28:29], v[162:163]
	v_add_f64_e32 v[36:37], v[40:41], v[36:37]
	v_fma_f64 v[40:41], v[12:13], s[22:23], -v[164:165]
	s_delay_alu instid0(VALU_DEP_1) | instskip(SKIP_1) | instid1(VALU_DEP_1)
	v_add_f64_e32 v[2:3], v[40:41], v[2:3]
	v_fma_f64 v[40:41], v[18:19], s[30:31], v[166:167]
	v_add_f64_e32 v[36:37], v[40:41], v[36:37]
	v_fma_f64 v[40:41], v[4:5], s[24:25], -v[168:169]
	s_delay_alu instid0(VALU_DEP_2) | instskip(NEXT) | instid1(VALU_DEP_2)
	v_add_f64_e32 v[151:152], v[44:45], v[36:37]
	v_add_f64_e32 v[149:150], v[40:41], v[2:3]
	v_mul_f64_e32 v[2:3], s[14:15], v[28:29]
	v_fma_f64 v[36:37], v[34:35], s[36:37], v[30:31]
	s_delay_alu instid0(VALU_DEP_2) | instskip(NEXT) | instid1(VALU_DEP_2)
	v_fma_f64 v[28:29], v[32:33], s[20:21], v[2:3]
	v_add_f64_e32 v[36:37], v[36:37], v[38:39]
	v_fma_f64 v[38:39], v[24:25], s[22:23], v[20:21]
	v_fma_f64 v[2:3], v[32:33], s[20:21], -v[2:3]
	v_fma_f64 v[20:21], v[24:25], s[22:23], -v[20:21]
	v_add_f64_e32 v[28:29], v[28:29], v[42:43]
	s_delay_alu instid0(VALU_DEP_3) | instskip(NEXT) | instid1(VALU_DEP_2)
	v_add_f64_e32 v[0:1], v[2:3], v[0:1]
	v_add_f64_e32 v[28:29], v[38:39], v[28:29]
	v_fma_f64 v[38:39], v[26:27], s[30:31], v[22:23]
	v_fma_f64 v[22:23], v[26:27], s[16:17], v[22:23]
	s_delay_alu instid0(VALU_DEP_4) | instskip(NEXT) | instid1(VALU_DEP_3)
	v_add_f64_e32 v[0:1], v[20:21], v[0:1]
	v_add_f64_e32 v[36:37], v[38:39], v[36:37]
	v_fma_f64 v[38:39], v[12:13], s[18:19], v[16:17]
	v_fma_f64 v[12:13], v[12:13], s[18:19], -v[16:17]
	s_delay_alu instid0(VALU_DEP_2) | instskip(SKIP_2) | instid1(VALU_DEP_4)
	v_add_f64_e32 v[28:29], v[38:39], v[28:29]
	v_fma_f64 v[38:39], v[18:19], s[8:9], v[14:15]
	v_fma_f64 v[14:15], v[18:19], s[10:11], v[14:15]
	v_add_f64_e32 v[0:1], v[12:13], v[0:1]
	s_delay_alu instid0(VALU_DEP_3) | instskip(SKIP_2) | instid1(VALU_DEP_2)
	v_add_f64_e32 v[36:37], v[38:39], v[36:37]
	v_fma_f64 v[38:39], v[4:5], s[12:13], v[10:11]
	v_fma_f64 v[4:5], v[4:5], s[12:13], -v[10:11]
	v_add_f64_e32 v[166:167], v[38:39], v[28:29]
	v_fma_f64 v[28:29], v[8:9], s[28:29], v[6:7]
	v_fma_f64 v[6:7], v[8:9], s[0:1], v[6:7]
	s_delay_alu instid0(VALU_DEP_4) | instskip(NEXT) | instid1(VALU_DEP_3)
	v_add_f64_e32 v[112:113], v[4:5], v[0:1]
	v_add_f64_e32 v[168:169], v[28:29], v[36:37]
	v_fma_f64 v[28:29], v[34:35], s[14:15], v[30:31]
	s_delay_alu instid0(VALU_DEP_1) | instskip(NEXT) | instid1(VALU_DEP_1)
	v_add_f64_e32 v[2:3], v[28:29], v[153:154]
	v_add_f64_e32 v[2:3], v[22:23], v[2:3]
	s_delay_alu instid0(VALU_DEP_1) | instskip(NEXT) | instid1(VALU_DEP_1)
	v_add_f64_e32 v[2:3], v[14:15], v[2:3]
	v_add_f64_e32 v[114:115], v[6:7], v[2:3]
	ds_store_b128 v124, v[120:123] offset:32
	ds_store_b128 v124, v[125:128] offset:48
	;; [unrolled: 1-line block ×9, first 2 shown]
	ds_store_b128 v124, v[116:119]
	ds_store_b128 v124, v[112:115] offset:160
	global_wb scope:SCOPE_SE
	s_wait_dscnt 0x0
	s_barrier_signal -1
	s_barrier_wait -1
	global_inv scope:SCOPE_SE
	ds_load_b128 v[120:123], v158
	ds_load_b128 v[124:127], v158 offset:352
	ds_load_b128 v[136:139], v158 offset:2288
	ds_load_b128 v[140:143], v158 offset:2640
	ds_load_b128 v[132:135], v158 offset:704
	ds_load_b128 v[128:131], v158 offset:1056
	ds_load_b128 v[152:155], v158 offset:1936
	ds_load_b128 v[116:119], v158 offset:1408
	ds_load_b128 v[148:151], v158 offset:2992
	ds_load_b128 v[144:147], v158 offset:3344
	s_and_saveexec_b32 s0, vcc_lo
	s_cbranch_execz .LBB0_7
; %bb.6:
	ds_load_b128 v[112:115], v158 offset:1760
	ds_load_b128 v[48:51], v158 offset:3696
.LBB0_7:
	s_wait_alu 0xfffe
	s_or_b32 exec_lo, exec_lo, s0
	s_wait_dscnt 0x3
	v_mul_f64_e32 v[0:1], v[58:59], v[154:155]
	v_mul_f64_e32 v[4:5], v[54:55], v[138:139]
	;; [unrolled: 1-line block ×3, first 2 shown]
	global_wb scope:SCOPE_SE
	s_wait_dscnt 0x0
	s_barrier_signal -1
	s_barrier_wait -1
	global_inv scope:SCOPE_SE
	v_mul_f64_e32 v[2:3], v[58:59], v[152:153]
	v_mul_f64_e32 v[8:9], v[70:71], v[142:143]
	;; [unrolled: 1-line block ×7, first 2 shown]
	v_fma_f64 v[0:1], v[56:57], v[152:153], v[0:1]
	v_fma_f64 v[4:5], v[52:53], v[136:137], v[4:5]
	v_fma_f64 v[6:7], v[52:53], v[138:139], -v[6:7]
	v_fma_f64 v[2:3], v[56:57], v[154:155], -v[2:3]
	v_fma_f64 v[8:9], v[68:69], v[140:141], v[8:9]
	v_fma_f64 v[10:11], v[68:69], v[142:143], -v[10:11]
	v_fma_f64 v[12:13], v[60:61], v[148:149], v[12:13]
	;; [unrolled: 2-line block ×3, first 2 shown]
	v_fma_f64 v[18:19], v[64:65], v[146:147], -v[18:19]
	v_add_f64_e64 v[52:53], v[120:121], -v[0:1]
	scratch_load_b32 v0, off, off offset:196 th:TH_LOAD_LU ; 4-byte Folded Reload
	v_add_f64_e64 v[56:57], v[124:125], -v[4:5]
	v_add_f64_e64 v[58:59], v[126:127], -v[6:7]
	;; [unrolled: 1-line block ×9, first 2 shown]
	v_fma_f64 v[120:121], v[120:121], 2.0, -v[52:53]
	v_fma_f64 v[124:125], v[124:125], 2.0, -v[56:57]
	;; [unrolled: 1-line block ×10, first 2 shown]
	s_wait_loadcnt 0x0
	ds_store_b128 v0, v[120:123]
	ds_store_b128 v0, v[52:55] offset:176
	scratch_load_b32 v0, off, off offset:192 th:TH_LOAD_LU ; 4-byte Folded Reload
	s_wait_loadcnt 0x0
	ds_store_b128 v0, v[124:127]
	ds_store_b128 v0, v[56:59] offset:176
	scratch_load_b32 v0, off, off offset:188 th:TH_LOAD_LU ; 4-byte Folded Reload
	;; [unrolled: 4-line block ×4, first 2 shown]
	s_wait_loadcnt 0x0
	ds_store_b128 v0, v[116:119]
	ds_store_b128 v0, v[68:71] offset:176
	s_and_saveexec_b32 s0, vcc_lo
	s_cbranch_execz .LBB0_9
; %bb.8:
	scratch_load_b128 v[4:7], off, off offset:200 th:TH_LOAD_LU ; 16-byte Folded Reload
	s_wait_loadcnt 0x0
	v_mul_f64_e32 v[0:1], v[6:7], v[48:49]
	v_mul_f64_e32 v[2:3], v[6:7], v[50:51]
	s_delay_alu instid0(VALU_DEP_2) | instskip(NEXT) | instid1(VALU_DEP_2)
	v_fma_f64 v[0:1], v[4:5], v[50:51], -v[0:1]
	v_fma_f64 v[2:3], v[4:5], v[48:49], v[2:3]
	s_delay_alu instid0(VALU_DEP_2) | instskip(SKIP_3) | instid1(VALU_DEP_2)
	v_add_f64_e64 v[46:47], v[114:115], -v[0:1]
	scratch_load_b32 v0, off, off offset:176 th:TH_LOAD_LU ; 4-byte Folded Reload
	v_add_f64_e64 v[44:45], v[112:113], -v[2:3]
	v_fma_f64 v[50:51], v[114:115], 2.0, -v[46:47]
	v_fma_f64 v[48:49], v[112:113], 2.0, -v[44:45]
	s_wait_loadcnt 0x0
	v_lshl_add_u32 v0, v0, 4, v159
	ds_store_b128 v0, v[48:51] offset:3520
	ds_store_b128 v0, v[44:47] offset:3696
.LBB0_9:
	s_wait_alu 0xfffe
	s_or_b32 exec_lo, exec_lo, s0
	global_wb scope:SCOPE_SE
	s_wait_dscnt 0x0
	s_barrier_signal -1
	s_barrier_wait -1
	global_inv scope:SCOPE_SE
	ds_load_b128 v[44:47], v158 offset:352
	ds_load_b128 v[52:55], v158 offset:3520
	ds_load_b128 v[56:59], v158 offset:704
	ds_load_b128 v[60:63], v158 offset:3168
	ds_load_b128 v[64:67], v158 offset:1056
	ds_load_b128 v[68:71], v158 offset:2816
	ds_load_b128 v[112:115], v158 offset:1408
	ds_load_b128 v[116:119], v158 offset:1760
	ds_load_b128 v[120:123], v158 offset:2464
	s_mov_b32 s0, 0xf8bb580b
	s_mov_b32 s8, 0x8764f0ba
	;; [unrolled: 1-line block ×15, first 2 shown]
	s_wait_dscnt 0x7
	v_mul_f64_e32 v[4:5], v[74:75], v[52:53]
	s_wait_dscnt 0x6
	v_mul_f64_e32 v[6:7], v[82:83], v[56:57]
	v_mul_f64_e32 v[0:1], v[78:79], v[46:47]
	;; [unrolled: 1-line block ×3, first 2 shown]
	s_wait_dscnt 0x5
	v_mul_f64_e32 v[8:9], v[86:87], v[60:61]
	v_mul_f64_e32 v[10:11], v[82:83], v[58:59]
	s_wait_dscnt 0x4
	v_mul_f64_e32 v[12:13], v[94:95], v[64:65]
	s_wait_dscnt 0x3
	v_mul_f64_e32 v[14:15], v[102:103], v[68:69]
	v_mul_f64_e32 v[18:19], v[94:95], v[66:67]
	;; [unrolled: 1-line block ×3, first 2 shown]
	s_wait_dscnt 0x2
	v_mul_f64_e32 v[26:27], v[90:91], v[112:113]
	s_wait_dscnt 0x0
	v_mul_f64_e32 v[28:29], v[98:99], v[122:123]
	v_mul_f64_e32 v[34:35], v[110:111], v[116:117]
	;; [unrolled: 1-line block ×7, first 2 shown]
	s_mov_b32 s27, 0xbfe4f49e
	s_mov_b32 s30, 0xfd768dbf
	;; [unrolled: 1-line block ×7, first 2 shown]
	s_wait_alu 0xfffe
	s_mov_b32 s10, s0
	s_mov_b32 s16, s12
	;; [unrolled: 1-line block ×8, first 2 shown]
	v_fma_f64 v[48:49], v[72:73], v[54:55], -v[4:5]
	v_fma_f64 v[4:5], v[80:81], v[58:59], -v[6:7]
	v_fma_f64 v[0:1], v[76:77], v[44:45], v[0:1]
	v_fma_f64 v[2:3], v[76:77], v[46:47], -v[2:3]
	ds_load_b128 v[76:79], v158 offset:2112
	ds_load_b128 v[44:47], v158
	v_fma_f64 v[50:51], v[84:85], v[62:63], -v[8:9]
	v_fma_f64 v[6:7], v[80:81], v[56:57], v[10:11]
	v_fma_f64 v[12:13], v[92:93], v[66:67], -v[12:13]
	v_fma_f64 v[56:57], v[100:101], v[70:71], -v[14:15]
	v_fma_f64 v[14:15], v[92:93], v[64:65], v[18:19]
	v_fma_f64 v[54:55], v[84:85], v[60:61], v[20:21]
	v_fma_f64 v[18:19], v[88:89], v[114:115], -v[26:27]
	v_fma_f64 v[20:21], v[96:97], v[120:121], v[28:29]
	v_fma_f64 v[26:27], v[108:109], v[118:119], -v[34:35]
	v_fma_f64 v[52:53], v[72:73], v[52:53], v[16:17]
	v_fma_f64 v[16:17], v[88:89], v[112:113], v[22:23]
	;; [unrolled: 1-line block ×3, first 2 shown]
	v_fma_f64 v[22:23], v[96:97], v[122:123], -v[30:31]
	v_fma_f64 v[24:25], v[108:109], v[116:117], v[32:33]
	s_wait_dscnt 0x1
	v_mul_f64_e32 v[36:37], v[106:107], v[78:79]
	v_mul_f64_e32 v[38:39], v[106:107], v[76:77]
	s_wait_dscnt 0x0
	v_add_f64_e32 v[8:9], v[44:45], v[0:1]
	v_add_f64_e32 v[10:11], v[46:47], v[2:3]
	v_add_f64_e64 v[32:33], v[2:3], -v[48:49]
	v_add_f64_e32 v[2:3], v[2:3], v[48:49]
	v_add_f64_e64 v[34:35], v[4:5], -v[50:51]
	v_add_f64_e32 v[42:43], v[6:7], v[54:55]
	v_add_f64_e32 v[40:41], v[0:1], v[52:53]
	v_add_f64_e64 v[0:1], v[0:1], -v[52:53]
	v_add_f64_e32 v[64:65], v[16:17], v[20:21]
	v_add_f64_e32 v[66:67], v[18:19], v[22:23]
	v_add_f64_e64 v[68:69], v[18:19], -v[22:23]
	v_add_f64_e64 v[70:71], v[16:17], -v[20:21]
	v_add_f64_e32 v[60:61], v[14:15], v[58:59]
	v_add_f64_e64 v[62:63], v[14:15], -v[58:59]
	v_fma_f64 v[28:29], v[104:105], v[76:77], v[36:37]
	v_add_f64_e32 v[36:37], v[4:5], v[50:51]
	v_fma_f64 v[30:31], v[104:105], v[78:79], -v[38:39]
	v_add_f64_e32 v[38:39], v[12:13], v[56:57]
	v_add_f64_e32 v[8:9], v[8:9], v[6:7]
	;; [unrolled: 1-line block ×3, first 2 shown]
	v_mul_f64_e32 v[80:81], s[0:1], v[32:33]
	v_mul_f64_e32 v[82:83], s[8:9], v[2:3]
	;; [unrolled: 1-line block ×10, first 2 shown]
	v_add_f64_e64 v[10:11], v[12:13], -v[56:57]
	v_add_f64_e64 v[6:7], v[6:7], -v[54:55]
	v_mul_f64_e32 v[96:97], s[12:13], v[34:35]
	v_mul_f64_e32 v[100:101], s[24:25], v[34:35]
	s_wait_alu 0xfffe
	v_mul_f64_e32 v[104:105], s[22:23], v[34:35]
	v_mul_f64_e32 v[124:125], s[24:25], v[68:69]
	;; [unrolled: 1-line block ×6, first 2 shown]
	v_add_f64_e32 v[72:73], v[24:25], v[28:29]
	v_mul_f64_e32 v[98:99], s[14:15], v[36:37]
	v_add_f64_e32 v[74:75], v[26:27], v[30:31]
	v_mul_f64_e32 v[102:103], s[34:35], v[36:37]
	v_mul_f64_e32 v[106:107], s[20:21], v[36:37]
	;; [unrolled: 1-line block ×6, first 2 shown]
	v_add_f64_e64 v[76:77], v[24:25], -v[28:29]
	v_add_f64_e64 v[78:79], v[26:27], -v[30:31]
	v_mul_f64_e32 v[38:39], s[26:27], v[38:39]
	v_mul_f64_e32 v[136:137], s[30:31], v[68:69]
	;; [unrolled: 1-line block ×5, first 2 shown]
	v_add_f64_e32 v[8:9], v[8:9], v[14:15]
	v_add_f64_e32 v[4:5], v[4:5], v[12:13]
	v_mul_f64_e32 v[12:13], s[26:27], v[36:37]
	v_mul_f64_e32 v[14:15], s[36:37], v[34:35]
	v_fma_f64 v[159:160], v[40:41], s[14:15], v[84:85]
	v_fma_f64 v[161:162], v[0:1], s[16:17], v[86:87]
	v_fma_f64 v[84:85], v[40:41], s[14:15], -v[84:85]
	v_fma_f64 v[163:164], v[40:41], s[20:21], v[88:89]
	v_fma_f64 v[165:166], v[0:1], s[22:23], v[90:91]
	v_fma_f64 v[88:89], v[40:41], s[20:21], -v[88:89]
	v_fma_f64 v[167:168], v[40:41], s[26:27], v[92:93]
	v_fma_f64 v[169:170], v[0:1], s[28:29], v[94:95]
	v_mul_f64_e32 v[34:35], s[10:11], v[34:35]
	v_mul_f64_e32 v[36:37], s[8:9], v[36:37]
	v_fma_f64 v[92:93], v[40:41], s[26:27], -v[92:93]
	v_fma_f64 v[171:172], v[40:41], s[34:35], v[32:33]
	v_fma_f64 v[173:174], v[0:1], s[36:37], v[2:3]
	v_fma_f64 v[86:87], v[0:1], s[12:13], v[86:87]
	v_fma_f64 v[90:91], v[0:1], s[18:19], v[90:91]
	v_fma_f64 v[94:95], v[0:1], s[24:25], v[94:95]
	v_fma_f64 v[32:33], v[40:41], s[34:35], -v[32:33]
	v_mul_f64_e32 v[108:109], s[18:19], v[10:11]
	v_mul_f64_e32 v[112:113], s[36:37], v[10:11]
	v_fma_f64 v[175:176], v[42:43], s[26:27], v[100:101]
	v_mul_f64_e32 v[142:143], s[34:35], v[74:75]
	v_mul_f64_e32 v[146:147], s[8:9], v[74:75]
	;; [unrolled: 1-line block ×5, first 2 shown]
	v_fma_f64 v[100:101], v[42:43], s[26:27], -v[100:101]
	v_fma_f64 v[181:182], v[6:7], s[30:31], v[102:103]
	v_mul_f64_e32 v[120:121], s[0:1], v[10:11]
	v_fma_f64 v[183:184], v[42:43], s[20:21], v[104:105]
	v_fma_f64 v[185:186], v[6:7], s[18:19], v[106:107]
	v_mul_f64_e32 v[10:11], s[24:25], v[10:11]
	v_fma_f64 v[104:105], v[42:43], s[20:21], -v[104:105]
	v_fma_f64 v[102:103], v[6:7], s[36:37], v[102:103]
	v_fma_f64 v[189:190], v[62:63], s[30:31], v[114:115]
	v_add_f64_e32 v[8:9], v[8:9], v[16:17]
	v_add_f64_e32 v[4:5], v[4:5], v[18:19]
	v_mul_f64_e32 v[16:17], s[20:21], v[74:75]
	v_fma_f64 v[18:19], v[40:41], s[8:9], v[80:81]
	v_fma_f64 v[74:75], v[0:1], s[10:11], v[82:83]
	v_fma_f64 v[80:81], v[40:41], s[8:9], -v[80:81]
	v_fma_f64 v[82:83], v[0:1], s[0:1], v[82:83]
	v_fma_f64 v[0:1], v[0:1], s[30:31], v[2:3]
	;; [unrolled: 1-line block ×4, first 2 shown]
	v_fma_f64 v[96:97], v[42:43], s[14:15], -v[96:97]
	v_fma_f64 v[98:99], v[6:7], s[12:13], v[98:99]
	v_fma_f64 v[177:178], v[6:7], s[28:29], v[12:13]
	v_add_f64_e32 v[159:160], v[44:45], v[159:160]
	v_add_f64_e32 v[161:162], v[46:47], v[161:162]
	v_fma_f64 v[179:180], v[42:43], s[34:35], v[14:15]
	v_add_f64_e32 v[84:85], v[44:45], v[84:85]
	v_add_f64_e32 v[163:164], v[44:45], v[163:164]
	;; [unrolled: 1-line block ×3, first 2 shown]
	v_fma_f64 v[14:15], v[42:43], s[34:35], -v[14:15]
	v_add_f64_e32 v[88:89], v[44:45], v[88:89]
	v_add_f64_e32 v[167:168], v[44:45], v[167:168]
	;; [unrolled: 1-line block ×6, first 2 shown]
	v_fma_f64 v[12:13], v[6:7], s[24:25], v[12:13]
	v_add_f64_e32 v[32:33], v[44:45], v[32:33]
	v_add_f64_e32 v[90:91], v[46:47], v[90:91]
	v_add_f64_e32 v[86:87], v[46:47], v[86:87]
	v_fma_f64 v[187:188], v[60:61], s[34:35], v[112:113]
	v_fma_f64 v[191:192], v[60:61], s[14:15], v[116:117]
	;; [unrolled: 1-line block ×3, first 2 shown]
	v_fma_f64 v[112:113], v[60:61], s[34:35], -v[112:113]
	v_fma_f64 v[116:117], v[60:61], s[14:15], -v[116:117]
	v_mul_f64_e32 v[66:67], s[14:15], v[66:67]
	v_fma_f64 v[118:119], v[62:63], s[16:17], v[118:119]
	v_fma_f64 v[114:115], v[62:63], s[36:37], v[114:115]
	v_add_f64_e32 v[8:9], v[8:9], v[24:25]
	v_add_f64_e32 v[4:5], v[4:5], v[26:27]
	v_fma_f64 v[24:25], v[6:7], s[22:23], v[106:107]
	v_add_f64_e32 v[18:19], v[44:45], v[18:19]
	v_fma_f64 v[26:27], v[42:43], s[8:9], v[34:35]
	v_add_f64_e32 v[80:81], v[44:45], v[80:81]
	v_add_f64_e32 v[82:83], v[46:47], v[82:83]
	v_fma_f64 v[106:107], v[6:7], s[0:1], v[36:37]
	v_fma_f64 v[34:35], v[42:43], s[8:9], -v[34:35]
	v_fma_f64 v[6:7], v[6:7], s[10:11], v[36:37]
	v_add_f64_e32 v[0:1], v[46:47], v[0:1]
	v_add_f64_e32 v[44:45], v[46:47], v[94:95]
	v_fma_f64 v[36:37], v[60:61], s[20:21], v[108:109]
	v_fma_f64 v[42:43], v[62:63], s[22:23], v[110:111]
	;; [unrolled: 1-line block ×4, first 2 shown]
	v_add_f64_e32 v[84:85], v[100:101], v[84:85]
	v_fma_f64 v[108:109], v[60:61], s[20:21], -v[108:109]
	v_add_f64_e32 v[100:101], v[181:182], v[165:166]
	v_mul_f64_e32 v[144:145], s[10:11], v[78:79]
	v_add_f64_e32 v[14:15], v[14:15], v[88:89]
	v_add_f64_e32 v[88:89], v[183:184], v[167:168]
	v_fma_f64 v[195:196], v[64:65], s[20:21], v[128:129]
	v_add_f64_e32 v[92:93], v[104:105], v[92:93]
	v_fma_f64 v[197:198], v[70:71], s[18:19], v[130:131]
	v_mul_f64_e32 v[140:141], s[30:31], v[78:79]
	v_mul_f64_e32 v[148:149], s[24:25], v[78:79]
	;; [unrolled: 1-line block ×3, first 2 shown]
	v_fma_f64 v[128:129], v[64:65], s[20:21], -v[128:129]
	v_add_f64_e32 v[12:13], v[12:13], v[86:87]
	v_fma_f64 v[86:87], v[70:71], s[36:37], v[138:139]
	v_mul_f64_e32 v[78:79], s[18:19], v[78:79]
	v_fma_f64 v[130:131], v[70:71], s[22:23], v[130:131]
	v_add_f64_e32 v[8:9], v[8:9], v[28:29]
	v_add_f64_e32 v[4:5], v[4:5], v[30:31]
	;; [unrolled: 1-line block ×4, first 2 shown]
	v_fma_f64 v[30:31], v[60:61], s[8:9], v[120:121]
	v_add_f64_e32 v[18:19], v[96:97], v[80:81]
	v_add_f64_e32 v[80:81], v[98:99], v[82:83]
	;; [unrolled: 1-line block ×5, first 2 shown]
	v_fma_f64 v[46:47], v[62:63], s[10:11], v[122:123]
	v_add_f64_e32 v[159:160], v[185:186], v[169:170]
	v_fma_f64 v[74:75], v[60:61], s[8:9], -v[120:121]
	v_fma_f64 v[120:121], v[60:61], s[26:27], v[10:11]
	v_fma_f64 v[122:123], v[62:63], s[28:29], v[38:39]
	v_add_f64_e32 v[26:27], v[26:27], v[171:172]
	v_add_f64_e32 v[104:105], v[106:107], v[173:174]
	v_fma_f64 v[10:11], v[60:61], s[26:27], -v[10:11]
	v_fma_f64 v[38:39], v[62:63], s[24:25], v[38:39]
	v_add_f64_e32 v[32:33], v[34:35], v[32:33]
	v_add_f64_e32 v[0:1], v[6:7], v[0:1]
	;; [unrolled: 1-line block ×4, first 2 shown]
	v_fma_f64 v[60:61], v[64:65], s[26:27], v[124:125]
	v_fma_f64 v[34:35], v[64:65], s[8:9], -v[132:133]
	v_fma_f64 v[44:45], v[64:65], s[34:35], v[136:137]
	v_add_f64_e32 v[84:85], v[112:113], v[84:85]
	v_add_f64_e32 v[14:15], v[116:117], v[14:15]
	v_fma_f64 v[106:107], v[64:65], s[14:15], v[68:69]
	v_fma_f64 v[124:125], v[64:65], s[26:27], -v[124:125]
	v_fma_f64 v[90:91], v[64:65], s[34:35], -v[136:137]
	v_fma_f64 v[102:103], v[70:71], s[30:31], v[138:139]
	v_add_f64_e32 v[12:13], v[114:115], v[12:13]
	v_fma_f64 v[62:63], v[70:71], s[28:29], v[126:127]
	v_fma_f64 v[126:127], v[70:71], s[24:25], v[126:127]
	;; [unrolled: 1-line block ×5, first 2 shown]
	v_add_f64_e32 v[8:9], v[8:9], v[20:21]
	v_add_f64_e32 v[4:5], v[4:5], v[22:23]
	;; [unrolled: 1-line block ×4, first 2 shown]
	v_fma_f64 v[22:23], v[64:65], s[8:9], v[132:133]
	v_fma_f64 v[28:29], v[70:71], s[10:11], v[134:135]
	v_add_f64_e32 v[36:37], v[110:111], v[80:81]
	v_add_f64_e32 v[80:81], v[187:188], v[82:83]
	;; [unrolled: 1-line block ×7, first 2 shown]
	v_fma_f64 v[132:133], v[70:71], s[12:13], v[66:67]
	v_fma_f64 v[64:65], v[64:65], s[14:15], -v[68:69]
	v_add_f64_e32 v[26:27], v[120:121], v[26:27]
	v_add_f64_e32 v[88:89], v[122:123], v[104:105]
	v_fma_f64 v[66:67], v[70:71], s[16:17], v[66:67]
	v_add_f64_e32 v[74:75], v[74:75], v[92:93]
	v_add_f64_e32 v[10:11], v[10:11], v[32:33]
	;; [unrolled: 1-line block ×4, first 2 shown]
	v_fma_f64 v[40:41], v[70:71], s[0:1], v[134:135]
	v_add_f64_e32 v[18:19], v[108:109], v[18:19]
	v_add_f64_e32 v[24:25], v[118:119], v[24:25]
	v_fma_f64 v[32:33], v[72:73], s[8:9], v[144:145]
	v_fma_f64 v[38:39], v[76:77], s[0:1], v[146:147]
	;; [unrolled: 1-line block ×11, first 2 shown]
	v_add_f64_e32 v[76:77], v[128:129], v[84:85]
	v_add_f64_e32 v[14:15], v[34:35], v[14:15]
	;; [unrolled: 1-line block ×6, first 2 shown]
	v_fma_f64 v[42:43], v[72:73], s[8:9], -v[144:145]
	v_fma_f64 v[118:119], v[72:73], s[20:21], v[78:79]
	v_fma_f64 v[70:71], v[72:73], s[34:35], -v[140:141]
	v_add_f64_e32 v[58:59], v[195:196], v[80:81]
	v_add_f64_e32 v[60:61], v[197:198], v[82:83]
	;; [unrolled: 1-line block ×6, first 2 shown]
	v_fma_f64 v[104:105], v[72:73], s[26:27], -v[148:149]
	v_fma_f64 v[114:115], v[72:73], s[14:15], -v[152:153]
	v_add_f64_e32 v[26:27], v[106:107], v[26:27]
	v_add_f64_e32 v[80:81], v[132:133], v[88:89]
	v_fma_f64 v[72:73], v[72:73], s[20:21], -v[78:79]
	v_add_f64_e32 v[46:47], v[90:91], v[74:75]
	v_add_f64_e32 v[10:11], v[64:65], v[10:11]
	v_add_f64_e32 v[0:1], v[66:67], v[0:1]
	v_add_f64_e32 v[6:7], v[102:103], v[6:7]
	v_add_f64_e32 v[12:13], v[130:131], v[12:13]
	v_add_f64_e32 v[18:19], v[124:125], v[18:19]
	v_add_f64_e32 v[24:25], v[40:41], v[24:25]
	v_add_f64_e32 v[36:37], v[126:127], v[36:37]
	s_mul_u64 s[0:1], s[4:5], 0x160
	v_add_f64_e32 v[8:9], v[8:9], v[54:55]
	v_add_f64_e32 v[4:5], v[4:5], v[50:51]
	;; [unrolled: 1-line block ×5, first 2 shown]
	v_mad_co_u64_u32 v[2:3], null, s4, v157, 0
	v_add_f64_e32 v[58:59], v[32:33], v[58:59]
	v_add_f64_e32 v[60:61], v[38:39], v[60:61]
	;; [unrolled: 1-line block ×17, first 2 shown]
	v_mad_co_u64_u32 v[0:1], null, s6, v156, 0
	v_add_f64_e32 v[50:51], v[8:9], v[52:53]
	v_add_f64_e32 v[52:53], v[4:5], v[48:49]
	;; [unrolled: 1-line block ×3, first 2 shown]
	s_delay_alu instid0(VALU_DEP_4)
	v_mad_co_u64_u32 v[4:5], null, s7, v156, v[1:2]
	ds_store_b128 v158, v[58:61] offset:704
	ds_store_b128 v158, v[66:69] offset:1056
	;; [unrolled: 1-line block ×9, first 2 shown]
	ds_store_b128 v158, v[50:53]
	ds_store_b128 v158, v[44:47] offset:352
	global_wb scope:SCOPE_SE
	s_wait_dscnt 0x0
	s_barrier_signal -1
	s_barrier_wait -1
	global_inv scope:SCOPE_SE
	ds_load_b128 v[44:47], v158
	ds_load_b128 v[48:51], v158 offset:352
	ds_load_b128 v[52:55], v158 offset:704
	;; [unrolled: 1-line block ×10, first 2 shown]
	s_clause 0x1
	scratch_load_b128 v[96:99], off, off th:TH_LOAD_LU
	scratch_load_b128 v[116:119], off, off offset:144 th:TH_LOAD_LU
	v_mad_co_u64_u32 v[5:6], null, s5, v157, v[3:4]
	v_mov_b32_e32 v1, v4
	s_delay_alu instid0(VALU_DEP_1) | instskip(NEXT) | instid1(VALU_DEP_3)
	v_lshlrev_b64_e32 v[0:1], 4, v[0:1]
	v_mov_b32_e32 v3, v5
	s_delay_alu instid0(VALU_DEP_1) | instskip(NEXT) | instid1(VALU_DEP_3)
	v_lshlrev_b64_e32 v[2:3], 4, v[2:3]
	v_add_co_u32 v0, vcc_lo, s2, v0
	s_wait_alu 0xfffd
	s_delay_alu instid0(VALU_DEP_4) | instskip(SKIP_1) | instid1(VALU_DEP_2)
	v_add_co_ci_u32_e32 v1, vcc_lo, s3, v1, vcc_lo
	s_mov_b32 s2, 0x6be69c90
	v_add_co_u32 v92, vcc_lo, v0, v2
	s_wait_alu 0xfffd
	s_delay_alu instid0(VALU_DEP_2)
	v_add_co_ci_u32_e32 v93, vcc_lo, v1, v3, vcc_lo
	s_mov_b32 s3, 0x3f70ecf5
	s_wait_alu 0xfffe
	v_add_co_u32 v94, vcc_lo, v92, s0
	s_wait_alu 0xfffd
	v_add_co_ci_u32_e32 v95, vcc_lo, s1, v93, vcc_lo
	s_wait_loadcnt_dscnt 0x10a
	v_mul_f64_e32 v[4:5], v[98:99], v[46:47]
	v_mul_f64_e32 v[6:7], v[98:99], v[44:45]
	scratch_load_b128 v[98:101], off, off offset:16 th:TH_LOAD_LU ; 16-byte Folded Reload
	s_wait_loadcnt_dscnt 0x102
	v_mul_f64_e32 v[36:37], v[118:119], v[78:79]
	v_mul_f64_e32 v[38:39], v[118:119], v[76:77]
	scratch_load_b128 v[118:121], off, off offset:160 th:TH_LOAD_LU ; 16-byte Folded Reload
	v_fma_f64 v[0:1], v[96:97], v[44:45], v[4:5]
	v_fma_f64 v[2:3], v[96:97], v[46:47], -v[6:7]
	v_add_co_u32 v44, vcc_lo, v94, s0
	s_wait_alu 0xfffd
	v_add_co_ci_u32_e32 v45, vcc_lo, s1, v95, vcc_lo
	s_delay_alu instid0(VALU_DEP_2) | instskip(SKIP_1) | instid1(VALU_DEP_2)
	v_add_co_u32 v46, vcc_lo, v44, s0
	s_wait_alu 0xfffd
	v_add_co_ci_u32_e32 v47, vcc_lo, s1, v45, vcc_lo
	v_mul_f64_e32 v[0:1], s[2:3], v[0:1]
	v_mul_f64_e32 v[2:3], s[2:3], v[2:3]
	s_wait_loadcnt 0x1
	v_mul_f64_e32 v[8:9], v[100:101], v[50:51]
	v_mul_f64_e32 v[10:11], v[100:101], v[48:49]
	scratch_load_b128 v[100:103], off, off offset:32 th:TH_LOAD_LU ; 16-byte Folded Reload
	s_wait_loadcnt_dscnt 0x100
	v_mul_f64_e32 v[88:89], v[120:121], v[86:87]
	v_mul_f64_e32 v[90:91], v[120:121], v[84:85]
	v_fma_f64 v[4:5], v[98:99], v[48:49], v[8:9]
	v_fma_f64 v[6:7], v[98:99], v[50:51], -v[10:11]
	v_add_co_u32 v48, vcc_lo, v46, s0
	s_wait_alu 0xfffd
	v_add_co_ci_u32_e32 v49, vcc_lo, s1, v47, vcc_lo
	s_delay_alu instid0(VALU_DEP_2) | instskip(SKIP_1) | instid1(VALU_DEP_2)
	v_add_co_u32 v50, vcc_lo, v48, s0
	s_wait_alu 0xfffd
	v_add_co_ci_u32_e32 v51, vcc_lo, s1, v49, vcc_lo
	v_mul_f64_e32 v[4:5], s[2:3], v[4:5]
	v_mul_f64_e32 v[6:7], s[2:3], v[6:7]
	s_wait_loadcnt 0x0
	v_mul_f64_e32 v[12:13], v[102:103], v[54:55]
	v_mul_f64_e32 v[14:15], v[102:103], v[52:53]
	scratch_load_b128 v[102:105], off, off offset:48 th:TH_LOAD_LU ; 16-byte Folded Reload
	v_fma_f64 v[8:9], v[100:101], v[52:53], v[12:13]
	v_fma_f64 v[10:11], v[100:101], v[54:55], -v[14:15]
	v_add_co_u32 v52, vcc_lo, v50, s0
	s_wait_alu 0xfffd
	v_add_co_ci_u32_e32 v53, vcc_lo, s1, v51, vcc_lo
	s_delay_alu instid0(VALU_DEP_2) | instskip(SKIP_1) | instid1(VALU_DEP_2)
	v_add_co_u32 v54, vcc_lo, v52, s0
	s_wait_alu 0xfffd
	v_add_co_ci_u32_e32 v55, vcc_lo, s1, v53, vcc_lo
	v_mul_f64_e32 v[8:9], s[2:3], v[8:9]
	v_mul_f64_e32 v[10:11], s[2:3], v[10:11]
	s_wait_loadcnt 0x0
	v_mul_f64_e32 v[16:17], v[104:105], v[58:59]
	v_mul_f64_e32 v[18:19], v[104:105], v[56:57]
	scratch_load_b128 v[104:107], off, off offset:64 th:TH_LOAD_LU ; 16-byte Folded Reload
	v_fma_f64 v[12:13], v[102:103], v[56:57], v[16:17]
	v_fma_f64 v[14:15], v[102:103], v[58:59], -v[18:19]
	v_add_co_u32 v56, vcc_lo, v54, s0
	s_wait_alu 0xfffd
	v_add_co_ci_u32_e32 v57, vcc_lo, s1, v55, vcc_lo
	s_delay_alu instid0(VALU_DEP_2) | instskip(SKIP_1) | instid1(VALU_DEP_2)
	v_add_co_u32 v58, vcc_lo, v56, s0
	s_wait_alu 0xfffd
	v_add_co_ci_u32_e32 v59, vcc_lo, s1, v57, vcc_lo
	v_mul_f64_e32 v[12:13], s[2:3], v[12:13]
	v_mul_f64_e32 v[14:15], s[2:3], v[14:15]
	s_wait_loadcnt 0x0
	v_mul_f64_e32 v[20:21], v[106:107], v[62:63]
	v_mul_f64_e32 v[22:23], v[106:107], v[60:61]
	scratch_load_b128 v[106:109], off, off offset:80 th:TH_LOAD_LU ; 16-byte Folded Reload
	v_fma_f64 v[16:17], v[104:105], v[60:61], v[20:21]
	v_fma_f64 v[18:19], v[104:105], v[62:63], -v[22:23]
	v_add_co_u32 v60, vcc_lo, v58, s0
	s_wait_alu 0xfffd
	v_add_co_ci_u32_e32 v61, vcc_lo, s1, v59, vcc_lo
	s_delay_alu instid0(VALU_DEP_4) | instskip(NEXT) | instid1(VALU_DEP_4)
	v_mul_f64_e32 v[16:17], s[2:3], v[16:17]
	v_mul_f64_e32 v[18:19], s[2:3], v[18:19]
	s_wait_loadcnt 0x0
	v_mul_f64_e32 v[24:25], v[108:109], v[66:67]
	v_mul_f64_e32 v[26:27], v[108:109], v[64:65]
	scratch_load_b128 v[108:111], off, off offset:96 th:TH_LOAD_LU ; 16-byte Folded Reload
	v_fma_f64 v[20:21], v[106:107], v[64:65], v[24:25]
	v_fma_f64 v[22:23], v[106:107], v[66:67], -v[26:27]
	s_delay_alu instid0(VALU_DEP_2) | instskip(NEXT) | instid1(VALU_DEP_2)
	v_mul_f64_e32 v[20:21], s[2:3], v[20:21]
	v_mul_f64_e32 v[22:23], s[2:3], v[22:23]
	s_wait_loadcnt 0x0
	v_mul_f64_e32 v[28:29], v[110:111], v[70:71]
	v_mul_f64_e32 v[30:31], v[110:111], v[68:69]
	scratch_load_b128 v[110:113], off, off offset:112 th:TH_LOAD_LU ; 16-byte Folded Reload
	v_fma_f64 v[24:25], v[108:109], v[68:69], v[28:29]
	v_fma_f64 v[26:27], v[108:109], v[70:71], -v[30:31]
	s_delay_alu instid0(VALU_DEP_2) | instskip(NEXT) | instid1(VALU_DEP_2)
	v_mul_f64_e32 v[24:25], s[2:3], v[24:25]
	v_mul_f64_e32 v[26:27], s[2:3], v[26:27]
	s_wait_loadcnt 0x0
	v_mul_f64_e32 v[32:33], v[112:113], v[74:75]
	v_mul_f64_e32 v[34:35], v[112:113], v[72:73]
	scratch_load_b128 v[112:115], off, off offset:128 th:TH_LOAD_LU ; 16-byte Folded Reload
	v_fma_f64 v[28:29], v[110:111], v[72:73], v[32:33]
	v_fma_f64 v[30:31], v[110:111], v[74:75], -v[34:35]
	v_fma_f64 v[32:33], v[116:117], v[76:77], v[36:37]
	v_fma_f64 v[34:35], v[116:117], v[78:79], -v[38:39]
	s_delay_alu instid0(VALU_DEP_4) | instskip(NEXT) | instid1(VALU_DEP_4)
	v_mul_f64_e32 v[28:29], s[2:3], v[28:29]
	v_mul_f64_e32 v[30:31], s[2:3], v[30:31]
	s_delay_alu instid0(VALU_DEP_4) | instskip(NEXT) | instid1(VALU_DEP_4)
	v_mul_f64_e32 v[32:33], s[2:3], v[32:33]
	v_mul_f64_e32 v[34:35], s[2:3], v[34:35]
	s_wait_loadcnt 0x0
	v_mul_f64_e32 v[40:41], v[114:115], v[82:83]
	v_mul_f64_e32 v[42:43], v[114:115], v[80:81]
	s_delay_alu instid0(VALU_DEP_2) | instskip(NEXT) | instid1(VALU_DEP_2)
	v_fma_f64 v[36:37], v[112:113], v[80:81], v[40:41]
	v_fma_f64 v[38:39], v[112:113], v[82:83], -v[42:43]
	v_fma_f64 v[40:41], v[118:119], v[84:85], v[88:89]
	v_fma_f64 v[42:43], v[118:119], v[86:87], -v[90:91]
	s_delay_alu instid0(VALU_DEP_4) | instskip(NEXT) | instid1(VALU_DEP_4)
	v_mul_f64_e32 v[36:37], s[2:3], v[36:37]
	v_mul_f64_e32 v[38:39], s[2:3], v[38:39]
	s_delay_alu instid0(VALU_DEP_4) | instskip(NEXT) | instid1(VALU_DEP_4)
	v_mul_f64_e32 v[40:41], s[2:3], v[40:41]
	v_mul_f64_e32 v[42:43], s[2:3], v[42:43]
	s_clause 0x4
	global_store_b128 v[92:93], v[0:3], off
	global_store_b128 v[94:95], v[4:7], off
	;; [unrolled: 1-line block ×11, first 2 shown]
.LBB0_10:
	s_nop 0
	s_sendmsg sendmsg(MSG_DEALLOC_VGPRS)
	s_endpgm
	.section	.rodata,"a",@progbits
	.p2align	6, 0x0
	.amdhsa_kernel bluestein_single_fwd_len242_dim1_dp_op_CI_CI
		.amdhsa_group_segment_fixed_size 19360
		.amdhsa_private_segment_fixed_size 220
		.amdhsa_kernarg_size 104
		.amdhsa_user_sgpr_count 2
		.amdhsa_user_sgpr_dispatch_ptr 0
		.amdhsa_user_sgpr_queue_ptr 0
		.amdhsa_user_sgpr_kernarg_segment_ptr 1
		.amdhsa_user_sgpr_dispatch_id 0
		.amdhsa_user_sgpr_private_segment_size 0
		.amdhsa_wavefront_size32 1
		.amdhsa_uses_dynamic_stack 0
		.amdhsa_enable_private_segment 1
		.amdhsa_system_sgpr_workgroup_id_x 1
		.amdhsa_system_sgpr_workgroup_id_y 0
		.amdhsa_system_sgpr_workgroup_id_z 0
		.amdhsa_system_sgpr_workgroup_info 0
		.amdhsa_system_vgpr_workitem_id 0
		.amdhsa_next_free_vgpr 256
		.amdhsa_next_free_sgpr 38
		.amdhsa_reserve_vcc 1
		.amdhsa_float_round_mode_32 0
		.amdhsa_float_round_mode_16_64 0
		.amdhsa_float_denorm_mode_32 3
		.amdhsa_float_denorm_mode_16_64 3
		.amdhsa_fp16_overflow 0
		.amdhsa_workgroup_processor_mode 1
		.amdhsa_memory_ordered 1
		.amdhsa_forward_progress 0
		.amdhsa_round_robin_scheduling 0
		.amdhsa_exception_fp_ieee_invalid_op 0
		.amdhsa_exception_fp_denorm_src 0
		.amdhsa_exception_fp_ieee_div_zero 0
		.amdhsa_exception_fp_ieee_overflow 0
		.amdhsa_exception_fp_ieee_underflow 0
		.amdhsa_exception_fp_ieee_inexact 0
		.amdhsa_exception_int_div_zero 0
	.end_amdhsa_kernel
	.text
.Lfunc_end0:
	.size	bluestein_single_fwd_len242_dim1_dp_op_CI_CI, .Lfunc_end0-bluestein_single_fwd_len242_dim1_dp_op_CI_CI
                                        ; -- End function
	.section	.AMDGPU.csdata,"",@progbits
; Kernel info:
; codeLenInByte = 14716
; NumSgprs: 40
; NumVgprs: 256
; ScratchSize: 220
; MemoryBound: 0
; FloatMode: 240
; IeeeMode: 1
; LDSByteSize: 19360 bytes/workgroup (compile time only)
; SGPRBlocks: 4
; VGPRBlocks: 31
; NumSGPRsForWavesPerEU: 40
; NumVGPRsForWavesPerEU: 256
; Occupancy: 5
; WaveLimiterHint : 1
; COMPUTE_PGM_RSRC2:SCRATCH_EN: 1
; COMPUTE_PGM_RSRC2:USER_SGPR: 2
; COMPUTE_PGM_RSRC2:TRAP_HANDLER: 0
; COMPUTE_PGM_RSRC2:TGID_X_EN: 1
; COMPUTE_PGM_RSRC2:TGID_Y_EN: 0
; COMPUTE_PGM_RSRC2:TGID_Z_EN: 0
; COMPUTE_PGM_RSRC2:TIDIG_COMP_CNT: 0
	.text
	.p2alignl 7, 3214868480
	.fill 96, 4, 3214868480
	.type	__hip_cuid_ad86b190033f2145,@object ; @__hip_cuid_ad86b190033f2145
	.section	.bss,"aw",@nobits
	.globl	__hip_cuid_ad86b190033f2145
__hip_cuid_ad86b190033f2145:
	.byte	0                               ; 0x0
	.size	__hip_cuid_ad86b190033f2145, 1

	.ident	"AMD clang version 19.0.0git (https://github.com/RadeonOpenCompute/llvm-project roc-6.4.0 25133 c7fe45cf4b819c5991fe208aaa96edf142730f1d)"
	.section	".note.GNU-stack","",@progbits
	.addrsig
	.addrsig_sym __hip_cuid_ad86b190033f2145
	.amdgpu_metadata
---
amdhsa.kernels:
  - .args:
      - .actual_access:  read_only
        .address_space:  global
        .offset:         0
        .size:           8
        .value_kind:     global_buffer
      - .actual_access:  read_only
        .address_space:  global
        .offset:         8
        .size:           8
        .value_kind:     global_buffer
      - .actual_access:  read_only
        .address_space:  global
        .offset:         16
        .size:           8
        .value_kind:     global_buffer
      - .actual_access:  read_only
        .address_space:  global
        .offset:         24
        .size:           8
        .value_kind:     global_buffer
      - .actual_access:  read_only
        .address_space:  global
        .offset:         32
        .size:           8
        .value_kind:     global_buffer
      - .offset:         40
        .size:           8
        .value_kind:     by_value
      - .address_space:  global
        .offset:         48
        .size:           8
        .value_kind:     global_buffer
      - .address_space:  global
        .offset:         56
        .size:           8
        .value_kind:     global_buffer
      - .address_space:  global
        .offset:         64
        .size:           8
        .value_kind:     global_buffer
      - .address_space:  global
        .offset:         72
        .size:           8
        .value_kind:     global_buffer
      - .offset:         80
        .size:           4
        .value_kind:     by_value
      - .address_space:  global
        .offset:         88
        .size:           8
        .value_kind:     global_buffer
      - .address_space:  global
        .offset:         96
        .size:           8
        .value_kind:     global_buffer
    .group_segment_fixed_size: 19360
    .kernarg_segment_align: 8
    .kernarg_segment_size: 104
    .language:       OpenCL C
    .language_version:
      - 2
      - 0
    .max_flat_workgroup_size: 110
    .name:           bluestein_single_fwd_len242_dim1_dp_op_CI_CI
    .private_segment_fixed_size: 220
    .sgpr_count:     40
    .sgpr_spill_count: 0
    .symbol:         bluestein_single_fwd_len242_dim1_dp_op_CI_CI.kd
    .uniform_work_group_size: 1
    .uses_dynamic_stack: false
    .vgpr_count:     256
    .vgpr_spill_count: 54
    .wavefront_size: 32
    .workgroup_processor_mode: 1
amdhsa.target:   amdgcn-amd-amdhsa--gfx1201
amdhsa.version:
  - 1
  - 2
...

	.end_amdgpu_metadata
